;; amdgpu-corpus repo=ROCm/rocFFT kind=compiled arch=gfx1201 opt=O3
	.text
	.amdgcn_target "amdgcn-amd-amdhsa--gfx1201"
	.amdhsa_code_object_version 6
	.protected	bluestein_single_fwd_len884_dim1_dp_op_CI_CI ; -- Begin function bluestein_single_fwd_len884_dim1_dp_op_CI_CI
	.globl	bluestein_single_fwd_len884_dim1_dp_op_CI_CI
	.p2align	8
	.type	bluestein_single_fwd_len884_dim1_dp_op_CI_CI,@function
bluestein_single_fwd_len884_dim1_dp_op_CI_CI: ; @bluestein_single_fwd_len884_dim1_dp_op_CI_CI
; %bb.0:
	s_load_b128 s[16:19], s[0:1], 0x28
	v_mul_u32_u24_e32 v1, 0x3c4, v0
	s_mov_b32 s2, exec_lo
	s_delay_alu instid0(VALU_DEP_1) | instskip(NEXT) | instid1(VALU_DEP_1)
	v_lshrrev_b32_e32 v1, 16, v1
	v_mad_co_u64_u32 v[63:64], null, ttmp9, 3, v[1:2]
	v_mov_b32_e32 v64, 0
                                        ; kill: def $vgpr2 killed $sgpr0 killed $exec
	s_wait_kmcnt 0x0
	s_delay_alu instid0(VALU_DEP_1)
	v_cmpx_gt_u64_e64 s[16:17], v[63:64]
	s_cbranch_execz .LBB0_18
; %bb.1:
	s_clause 0x1
	s_load_b128 s[4:7], s[0:1], 0x18
	s_load_b128 s[8:11], s[0:1], 0x0
	v_mul_lo_u16 v1, 0x44, v1
	s_mov_b32 s28, 0x42a4c3d2
	s_mov_b32 s26, 0x66966769
	;; [unrolled: 1-line block ×4, first 2 shown]
	v_sub_nc_u16 v24, v0, v1
	s_mov_b32 s16, 0x4bc48dbf
	s_mov_b32 s35, 0xbfddbe06
	;; [unrolled: 1-line block ×4, first 2 shown]
	v_and_b32_e32 v7, 0xffff, v24
	s_mov_b32 s27, 0xbfefc445
	s_mov_b32 s25, 0xbfedeba7
	;; [unrolled: 1-line block ×4, first 2 shown]
	scratch_store_b32 off, v7, off          ; 4-byte Folded Spill
	s_mov_b32 s30, 0xe00740e9
	s_mov_b32 s20, 0x1ea71119
	s_wait_kmcnt 0x0
	s_load_b128 s[12:15], s[4:5], 0x0
	s_mov_b32 s31, 0x3fec55a7
	s_mov_b32 s21, 0x3fe22d96
	;; [unrolled: 1-line block ×8, first 2 shown]
	v_lshlrev_b32_e32 v206, 4, v7
	s_wait_kmcnt 0x0
	v_mad_co_u64_u32 v[0:1], null, s14, v63, 0
	v_mad_co_u64_u32 v[2:3], null, s12, v7, 0
	s_mul_u64 s[2:3], s[12:13], 0x440
	s_delay_alu instid0(VALU_DEP_1) | instskip(SKIP_2) | instid1(VALU_DEP_1)
	v_mad_co_u64_u32 v[4:5], null, s15, v63, v[1:2]
	s_mov_b32 s14, 0xb2365da1
	s_mov_b32 s15, 0xbfd6b1d8
	v_mad_co_u64_u32 v[5:6], null, s13, v7, v[3:4]
	v_mov_b32_e32 v1, v4
	s_mov_b32 s12, 0xd0032e0c
	s_mov_b32 s13, 0xbfe7f3cc
	s_delay_alu instid0(VALU_DEP_1) | instskip(NEXT) | instid1(VALU_DEP_3)
	v_lshlrev_b64_e32 v[0:1], 4, v[0:1]
	v_mov_b32_e32 v3, v5
	s_delay_alu instid0(VALU_DEP_2) | instskip(NEXT) | instid1(VALU_DEP_2)
	v_add_co_u32 v0, vcc_lo, s18, v0
	v_lshlrev_b64_e32 v[2:3], 4, v[2:3]
	s_delay_alu instid0(VALU_DEP_4) | instskip(SKIP_2) | instid1(VALU_DEP_2)
	v_add_co_ci_u32_e32 v1, vcc_lo, s19, v1, vcc_lo
	s_mov_b32 s18, 0xebaa3ed8
	s_mov_b32 s19, 0x3fbedb7d
	v_add_co_u32 v4, vcc_lo, v0, v2
	s_wait_alu 0xfffd
	v_add_co_ci_u32_e32 v5, vcc_lo, v1, v3, vcc_lo
	s_delay_alu instid0(VALU_DEP_2) | instskip(SKIP_1) | instid1(VALU_DEP_2)
	v_add_co_u32 v8, vcc_lo, v4, s2
	s_wait_alu 0xfffd
	v_add_co_ci_u32_e32 v9, vcc_lo, s3, v5, vcc_lo
	global_load_b128 v[0:3], v[4:5], off
	s_clause 0x1
	global_load_b128 v[84:87], v206, s[8:9]
	global_load_b128 v[80:83], v206, s[8:9] offset:1088
	global_load_b128 v[4:7], v[8:9], off
	v_add_co_u32 v12, vcc_lo, v8, s2
	s_wait_alu 0xfffd
	v_add_co_ci_u32_e32 v13, vcc_lo, s3, v9, vcc_lo
	s_delay_alu instid0(VALU_DEP_2) | instskip(SKIP_1) | instid1(VALU_DEP_2)
	v_add_co_u32 v16, vcc_lo, v12, s2
	s_wait_alu 0xfffd
	v_add_co_ci_u32_e32 v17, vcc_lo, s3, v13, vcc_lo
	global_load_b128 v[8:11], v[12:13], off
	s_clause 0x1
	global_load_b128 v[68:71], v206, s[8:9] offset:2176
	global_load_b128 v[64:67], v206, s[8:9] offset:3264
	global_load_b128 v[12:15], v[16:17], off
	v_add_co_u32 v20, vcc_lo, v16, s2
	s_wait_alu 0xfffd
	v_add_co_ci_u32_e32 v21, vcc_lo, s3, v17, vcc_lo
	global_load_b128 v[72:75], v206, s[8:9] offset:4352
	global_load_b128 v[16:19], v[20:21], off
	v_add_co_u32 v25, vcc_lo, v20, s2
	s_wait_alu 0xfffd
	v_add_co_ci_u32_e32 v26, vcc_lo, s3, v21, vcc_lo
	;; [unrolled: 5-line block ×8, first 2 shown]
	global_load_b128 v[108:111], v206, s[8:9] offset:11968
	global_load_b128 v[45:48], v[57:58], off
	s_wait_loadcnt 0x16
	scratch_store_b128 off, v[84:87], off offset:112 ; 16-byte Folded Spill
	v_mul_f64_e32 v[49:50], v[2:3], v[86:87]
	s_wait_loadcnt 0x14
	v_mul_f64_e32 v[53:54], v[6:7], v[82:83]
	v_mul_f64_e32 v[51:52], v[0:1], v[86:87]
	;; [unrolled: 1-line block ×3, first 2 shown]
	scratch_store_b128 off, v[80:83], off offset:96 ; 16-byte Folded Spill
	s_wait_loadcnt 0x12
	scratch_store_b128 off, v[68:71], off offset:48 ; 16-byte Folded Spill
	v_mul_f64_e32 v[59:60], v[10:11], v[70:71]
	s_wait_loadcnt 0x10
	v_mul_f64_e32 v[61:62], v[14:15], v[66:67]
	v_fma_f64 v[0:1], v[0:1], v[84:85], v[49:50]
	v_mul_f64_e32 v[49:50], v[8:9], v[70:71]
	v_fma_f64 v[4:5], v[4:5], v[80:81], v[53:54]
	v_mul_f64_e32 v[53:54], v[12:13], v[66:67]
	v_fma_f64 v[2:3], v[2:3], v[84:85], -v[51:52]
	v_add_co_u32 v51, vcc_lo, v57, s2
	s_wait_alu 0xfffd
	v_add_co_ci_u32_e32 v52, vcc_lo, s3, v58, vcc_lo
	v_fma_f64 v[6:7], v[6:7], v[80:81], -v[55:56]
	s_wait_loadcnt 0xe
	v_mul_f64_e32 v[55:56], v[16:17], v[74:75]
	v_fma_f64 v[8:9], v[8:9], v[68:69], v[59:60]
	v_mul_hi_u32 v57, 0xaaaaaaab, v63
	v_fma_f64 v[12:13], v[12:13], v[64:65], v[61:62]
	s_mov_b32 s2, 0x93053d00
	s_mov_b32 s3, 0xbfef11f4
	v_cmp_gt_u16_e32 vcc_lo, 17, v24
	s_delay_alu instid0(VALU_DEP_3)
	v_lshrrev_b32_e32 v57, 1, v57
	v_fma_f64 v[10:11], v[10:11], v[68:69], -v[49:50]
	global_load_b128 v[68:71], v206, s[8:9] offset:13056
	global_load_b128 v[49:52], v[51:52], off
	v_fma_f64 v[14:15], v[14:15], v[64:65], -v[53:54]
	v_mul_f64_e32 v[53:54], v[18:19], v[74:75]
	scratch_store_b128 off, v[72:75], off offset:64 ; 16-byte Folded Spill
	s_wait_loadcnt 0xf
	scratch_store_b128 off, v[76:79], off offset:80 ; 16-byte Folded Spill
	s_wait_loadcnt 0xd
	;; [unrolled: 2-line block ×5, first 2 shown]
	scratch_store_b128 off, v[100:103], off offset:176 ; 16-byte Folded Spill
	v_fma_f64 v[18:19], v[18:19], v[72:73], -v[55:56]
	v_mul_f64_e32 v[55:56], v[20:21], v[78:79]
	s_wait_loadcnt 0x5
	scratch_store_b128 off, v[104:107], off offset:192 ; 16-byte Folded Spill
	s_wait_loadcnt 0x3
	scratch_store_b128 off, v[108:111], off offset:208 ; 16-byte Folded Spill
	s_load_b128 s[4:7], s[6:7], 0x0
	v_fma_f64 v[16:17], v[16:17], v[72:73], v[53:54]
	v_mul_f64_e32 v[53:54], v[22:23], v[78:79]
	v_fma_f64 v[22:23], v[22:23], v[76:77], -v[55:56]
	v_mul_f64_e32 v[55:56], v[25:26], v[90:91]
	s_delay_alu instid0(VALU_DEP_3) | instskip(SKIP_1) | instid1(VALU_DEP_3)
	v_fma_f64 v[20:21], v[20:21], v[76:77], v[53:54]
	v_mul_f64_e32 v[53:54], v[27:28], v[90:91]
	v_fma_f64 v[27:28], v[27:28], v[88:89], -v[55:56]
	v_mul_f64_e32 v[55:56], v[29:30], v[94:95]
	s_delay_alu instid0(VALU_DEP_3) | instskip(SKIP_1) | instid1(VALU_DEP_3)
	;; [unrolled: 5-line block ×5, first 2 shown]
	v_fma_f64 v[37:38], v[37:38], v[100:101], v[53:54]
	v_mul_f64_e32 v[53:54], v[43:44], v[106:107]
	v_fma_f64 v[43:44], v[43:44], v[104:105], -v[55:56]
	s_wait_loadcnt 0x2
	v_mul_f64_e32 v[55:56], v[45:46], v[110:111]
	s_delay_alu instid0(VALU_DEP_3) | instskip(SKIP_1) | instid1(VALU_DEP_3)
	v_fma_f64 v[41:42], v[41:42], v[104:105], v[53:54]
	v_mul_f64_e32 v[53:54], v[47:48], v[110:111]
	v_fma_f64 v[47:48], v[47:48], v[108:109], -v[55:56]
	s_delay_alu instid0(VALU_DEP_2)
	v_fma_f64 v[45:46], v[45:46], v[108:109], v[53:54]
	s_wait_loadcnt 0x1
	scratch_store_b128 off, v[68:71], off offset:224 ; 16-byte Folded Spill
	s_wait_loadcnt 0x0
	v_mul_f64_e32 v[53:54], v[51:52], v[70:71]
	v_mul_f64_e32 v[55:56], v[49:50], v[70:71]
	s_delay_alu instid0(VALU_DEP_2) | instskip(NEXT) | instid1(VALU_DEP_2)
	v_fma_f64 v[49:50], v[49:50], v[68:69], v[53:54]
	v_fma_f64 v[51:52], v[51:52], v[68:69], -v[55:56]
	v_lshl_add_u32 v53, v57, 1, v57
	v_mov_b32_e32 v54, v63
	scratch_store_b128 off, v[64:67], off offset:32 ; 16-byte Folded Spill
	v_sub_nc_u32_e32 v53, v63, v53
	scratch_store_b64 off, v[54:55], off offset:24 ; 8-byte Folded Spill
	v_mul_u32_u24_e32 v53, 0x374, v53
	s_delay_alu instid0(VALU_DEP_1) | instskip(NEXT) | instid1(VALU_DEP_1)
	v_lshlrev_b32_e32 v196, 4, v53
	v_add_nc_u32_e32 v255, v206, v196
	ds_store_b128 v255, v[0:3]
	ds_store_b128 v255, v[4:7] offset:1088
	ds_store_b128 v255, v[8:11] offset:2176
	ds_store_b128 v255, v[12:15] offset:3264
	ds_store_b128 v255, v[16:19] offset:4352
	ds_store_b128 v255, v[20:23] offset:5440
	ds_store_b128 v255, v[25:28] offset:6528
	ds_store_b128 v255, v[29:32] offset:7616
	ds_store_b128 v255, v[33:36] offset:8704
	ds_store_b128 v255, v[37:40] offset:9792
	ds_store_b128 v255, v[41:44] offset:10880
	ds_store_b128 v255, v[45:48] offset:11968
	ds_store_b128 v255, v[49:52] offset:13056
	global_wb scope:SCOPE_SE
	s_wait_storecnt_dscnt 0x0
	s_wait_kmcnt 0x0
	s_barrier_signal -1
	s_barrier_wait -1
	global_inv scope:SCOPE_SE
	ds_load_b128 v[52:55], v255
	ds_load_b128 v[56:59], v255 offset:1088
	ds_load_b128 v[60:63], v255 offset:2176
	;; [unrolled: 1-line block ×11, first 2 shown]
	scratch_store_b32 off, v196, off offset:4 ; 4-byte Folded Spill
	s_wait_dscnt 0xa
	v_add_f64_e32 v[0:1], v[52:53], v[56:57]
	v_add_f64_e32 v[2:3], v[54:55], v[58:59]
	s_wait_dscnt 0x4
	v_add_f64_e64 v[12:13], v[4:5], -v[8:9]
	v_add_f64_e64 v[14:15], v[6:7], -v[10:11]
	s_wait_dscnt 0x1
	v_add_f64_e32 v[49:50], v[64:65], v[25:26]
	v_add_f64_e32 v[76:77], v[66:67], v[27:28]
	v_add_f64_e64 v[78:79], v[64:65], -v[25:26]
	v_add_f64_e64 v[80:81], v[66:67], -v[27:28]
	s_wait_dscnt 0x0
	v_add_f64_e64 v[82:83], v[62:63], -v[31:32]
	v_add_f64_e64 v[84:85], v[60:61], -v[29:30]
	v_add_f64_e32 v[86:87], v[60:61], v[29:30]
	v_add_f64_e32 v[88:89], v[62:63], v[31:32]
	;; [unrolled: 1-line block ×4, first 2 shown]
	v_mul_f64_e32 v[142:143], s[22:23], v[12:13]
	v_mul_f64_e32 v[140:141], s[22:23], v[14:15]
	;; [unrolled: 1-line block ×12, first 2 shown]
	s_mov_b32 s41, 0x3fea55e2
	s_mov_b32 s40, s28
	v_mul_f64_e32 v[164:165], s[36:37], v[82:83]
	s_wait_alu 0xfffe
	v_mul_f64_e32 v[160:161], s[40:41], v[14:15]
	v_mul_f64_e32 v[162:163], s[40:41], v[12:13]
	;; [unrolled: 1-line block ×3, first 2 shown]
	v_add_f64_e32 v[0:1], v[0:1], v[64:65]
	v_add_f64_e32 v[2:3], v[2:3], v[66:67]
	s_delay_alu instid0(VALU_DEP_2) | instskip(NEXT) | instid1(VALU_DEP_2)
	v_add_f64_e32 v[0:1], v[0:1], v[68:69]
	v_add_f64_e32 v[2:3], v[2:3], v[70:71]
	s_delay_alu instid0(VALU_DEP_2) | instskip(NEXT) | instid1(VALU_DEP_2)
	;; [unrolled: 3-line block ×6, first 2 shown]
	v_add_f64_e32 v[33:34], v[0:1], v[20:21]
	v_add_f64_e32 v[35:36], v[2:3], v[22:23]
	v_add_f64_e32 v[0:1], v[4:5], v[8:9]
	v_add_f64_e32 v[4:5], v[72:73], v[16:17]
	v_add_f64_e64 v[16:17], v[72:73], -v[16:17]
	v_add_f64_e32 v[2:3], v[6:7], v[10:11]
	v_add_f64_e32 v[8:9], v[68:69], v[20:21]
	;; [unrolled: 1-line block ×3, first 2 shown]
	v_add_f64_e64 v[20:21], v[68:69], -v[20:21]
	v_add_f64_e64 v[22:23], v[70:71], -v[22:23]
	v_add_f64_e32 v[6:7], v[74:75], v[18:19]
	v_add_f64_e64 v[18:19], v[74:75], -v[18:19]
	v_add_f64_e32 v[25:26], v[33:34], v[25:26]
	v_add_f64_e32 v[27:28], v[35:36], v[27:28]
	v_mul_f64_e32 v[118:119], s[36:37], v[16:17]
	v_mul_f64_e32 v[138:139], s[28:29], v[16:17]
	;; [unrolled: 1-line block ×8, first 2 shown]
	s_mov_b32 s39, 0x3fcea1e5
	s_mov_b32 s38, s16
	s_wait_alu 0xfffe
	v_mul_f64_e32 v[156:157], s[38:39], v[18:19]
	v_mul_f64_e32 v[158:159], s[38:39], v[16:17]
	;; [unrolled: 1-line block ×4, first 2 shown]
	v_add_f64_e32 v[29:30], v[25:26], v[29:30]
	v_add_f64_e32 v[31:32], v[27:28], v[31:32]
	ds_load_b128 v[25:28], v255 offset:13056
	global_wb scope:SCOPE_SE
	s_wait_storecnt_dscnt 0x0
	s_barrier_signal -1
	s_barrier_wait -1
	global_inv scope:SCOPE_SE
	v_add_f64_e64 v[33:34], v[58:59], -v[27:28]
	v_add_f64_e64 v[35:36], v[56:57], -v[25:26]
	v_add_f64_e32 v[37:38], v[56:57], v[25:26]
	v_add_f64_e32 v[39:40], v[58:59], v[27:28]
	;; [unrolled: 1-line block ×4, first 2 shown]
	v_mul_f64_e32 v[25:26], s[34:35], v[33:34]
	v_mul_f64_e32 v[27:28], s[28:29], v[33:34]
	;; [unrolled: 1-line block ×10, first 2 shown]
	v_fma_f64 v[43:44], v[37:38], s[30:31], -v[25:26]
	v_fma_f64 v[25:26], v[37:38], s[30:31], v[25:26]
	v_fma_f64 v[45:46], v[37:38], s[20:21], -v[27:28]
	v_fma_f64 v[27:28], v[37:38], s[20:21], v[27:28]
	;; [unrolled: 2-line block ×6, first 2 shown]
	v_mul_f64_e32 v[37:38], s[34:35], v[35:36]
	v_mul_f64_e32 v[35:36], s[16:17], v[35:36]
	v_fma_f64 v[96:97], v[39:40], s[12:13], v[72:73]
	v_fma_f64 v[94:95], v[39:40], s[14:15], v[70:71]
	;; [unrolled: 1-line block ×3, first 2 shown]
	v_fma_f64 v[66:67], v[39:40], s[20:21], -v[66:67]
	v_fma_f64 v[92:93], v[39:40], s[18:19], v[68:69]
	v_fma_f64 v[68:69], v[39:40], s[18:19], -v[68:69]
	v_fma_f64 v[70:71], v[39:40], s[14:15], -v[70:71]
	;; [unrolled: 1-line block ×3, first 2 shown]
	s_mov_b32 s35, 0x3fddbe06
	s_wait_alu 0xfffe
	v_mul_f64_e32 v[120:121], s[34:35], v[14:15]
	v_mul_f64_e32 v[122:123], s[34:35], v[12:13]
	v_mul_f64_e32 v[132:133], s[34:35], v[22:23]
	v_mul_f64_e32 v[134:135], s[34:35], v[20:21]
	v_mul_f64_e32 v[148:149], s[34:35], v[80:81]
	v_mul_f64_e32 v[150:151], s[34:35], v[78:79]
	v_mul_f64_e32 v[172:173], s[34:35], v[18:19]
	v_mul_f64_e32 v[174:175], s[34:35], v[16:17]
	v_add_f64_e32 v[100:101], v[52:53], v[43:44]
	v_add_f64_e32 v[104:105], v[52:53], v[25:26]
	;; [unrolled: 1-line block ×5, first 2 shown]
	v_fma_f64 v[74:75], v[39:40], s[30:31], v[37:38]
	v_fma_f64 v[98:99], v[39:40], s[2:3], v[35:36]
	v_add_f64_e32 v[62:63], v[54:55], v[96:97]
	v_mul_f64_e32 v[96:97], s[24:25], v[82:83]
	v_fma_f64 v[37:38], v[39:40], s[30:31], -v[37:38]
	v_fma_f64 v[35:36], v[39:40], s[2:3], -v[35:36]
	v_add_f64_e32 v[39:40], v[52:53], v[47:48]
	v_add_f64_e32 v[47:48], v[54:55], v[94:95]
	;; [unrolled: 1-line block ×6, first 2 shown]
	v_fma_f64 v[29:30], v[49:50], s[2:3], -v[108:109]
	v_add_f64_e32 v[68:69], v[54:55], v[68:69]
	v_add_f64_e32 v[70:71], v[54:55], v[70:71]
	;; [unrolled: 1-line block ×6, first 2 shown]
	v_fma_f64 v[27:28], v[86:87], s[14:15], -v[96:97]
	v_mul_f64_e32 v[98:99], s[24:25], v[84:85]
	v_add_f64_e32 v[106:107], v[54:55], v[37:38]
	v_add_f64_e32 v[37:38], v[54:55], v[90:91]
	;; [unrolled: 1-line block ×5, first 2 shown]
	v_fma_f64 v[31:32], v[88:89], s[2:3], v[126:127]
	v_fma_f64 v[33:34], v[49:50], s[14:15], -v[128:129]
	v_add_f64_e32 v[53:54], v[54:55], v[35:36]
	v_fma_f64 v[35:36], v[88:89], s[12:13], v[146:147]
	v_add_f64_e32 v[25:26], v[27:28], v[25:26]
	v_fma_f64 v[27:28], v[88:89], s[14:15], v[98:99]
	v_add_f64_e32 v[31:32], v[31:32], v[43:44]
	s_delay_alu instid0(VALU_DEP_4)
	v_add_f64_e32 v[35:36], v[35:36], v[47:48]
	v_mul_f64_e32 v[47:48], s[34:35], v[84:85]
	v_add_f64_e32 v[25:26], v[29:30], v[25:26]
	v_add_f64_e32 v[27:28], v[27:28], v[37:38]
	v_fma_f64 v[29:30], v[76:77], s[2:3], v[110:111]
	v_fma_f64 v[37:38], v[49:50], s[30:31], -v[148:149]
	s_delay_alu instid0(VALU_DEP_2) | instskip(SKIP_1) | instid1(VALU_DEP_1)
	v_add_f64_e32 v[27:28], v[29:30], v[27:28]
	v_fma_f64 v[29:30], v[8:9], s[12:13], -v[112:113]
	v_add_f64_e32 v[25:26], v[29:30], v[25:26]
	v_fma_f64 v[29:30], v[10:11], s[12:13], v[114:115]
	s_delay_alu instid0(VALU_DEP_1) | instskip(SKIP_1) | instid1(VALU_DEP_1)
	v_add_f64_e32 v[27:28], v[29:30], v[27:28]
	v_fma_f64 v[29:30], v[4:5], s[18:19], -v[116:117]
	v_add_f64_e32 v[25:26], v[29:30], v[25:26]
	v_fma_f64 v[29:30], v[6:7], s[18:19], v[118:119]
	s_delay_alu instid0(VALU_DEP_1) | instskip(SKIP_1) | instid1(VALU_DEP_1)
	;; [unrolled: 5-line block ×3, first 2 shown]
	v_add_f64_e32 v[27:28], v[29:30], v[27:28]
	v_fma_f64 v[29:30], v[86:87], s[2:3], -v[124:125]
	v_add_f64_e32 v[29:30], v[29:30], v[39:40]
	s_delay_alu instid0(VALU_DEP_1) | instskip(SKIP_1) | instid1(VALU_DEP_1)
	v_add_f64_e32 v[29:30], v[33:34], v[29:30]
	v_fma_f64 v[33:34], v[76:77], s[14:15], v[130:131]
	v_add_f64_e32 v[31:32], v[33:34], v[31:32]
	v_fma_f64 v[33:34], v[8:9], s[30:31], -v[132:133]
	s_delay_alu instid0(VALU_DEP_1) | instskip(SKIP_1) | instid1(VALU_DEP_1)
	v_add_f64_e32 v[29:30], v[33:34], v[29:30]
	v_fma_f64 v[33:34], v[10:11], s[30:31], v[134:135]
	v_add_f64_e32 v[31:32], v[33:34], v[31:32]
	v_fma_f64 v[33:34], v[4:5], s[20:21], -v[136:137]
	;; [unrolled: 5-line block ×4, first 2 shown]
	s_delay_alu instid0(VALU_DEP_1) | instskip(SKIP_2) | instid1(VALU_DEP_3)
	v_add_f64_e32 v[33:34], v[33:34], v[45:46]
	v_mul_f64_e32 v[45:46], s[34:35], v[82:83]
	v_mul_f64_e32 v[82:83], s[28:29], v[82:83]
	v_add_f64_e32 v[33:34], v[37:38], v[33:34]
	v_fma_f64 v[37:38], v[76:77], s[30:31], v[150:151]
	s_delay_alu instid0(VALU_DEP_1) | instskip(SKIP_1) | instid1(VALU_DEP_1)
	v_add_f64_e32 v[35:36], v[37:38], v[35:36]
	v_fma_f64 v[37:38], v[8:9], s[18:19], -v[152:153]
	v_add_f64_e32 v[33:34], v[37:38], v[33:34]
	v_fma_f64 v[37:38], v[10:11], s[18:19], v[154:155]
	s_delay_alu instid0(VALU_DEP_1) | instskip(SKIP_1) | instid1(VALU_DEP_1)
	v_add_f64_e32 v[35:36], v[37:38], v[35:36]
	v_fma_f64 v[37:38], v[4:5], s[2:3], -v[156:157]
	;; [unrolled: 5-line block ×4, first 2 shown]
	v_add_f64_e32 v[37:38], v[37:38], v[60:61]
	v_mul_f64_e32 v[60:61], s[36:37], v[84:85]
	v_mul_f64_e32 v[84:85], s[28:29], v[84:85]
	s_delay_alu instid0(VALU_DEP_2) | instskip(NEXT) | instid1(VALU_DEP_1)
	v_fma_f64 v[39:40], v[88:89], s[18:19], v[60:61]
	v_add_f64_e32 v[39:40], v[39:40], v[62:63]
	v_mul_f64_e32 v[62:63], s[28:29], v[80:81]
	s_delay_alu instid0(VALU_DEP_1) | instskip(NEXT) | instid1(VALU_DEP_1)
	v_fma_f64 v[43:44], v[49:50], s[20:21], -v[62:63]
	v_add_f64_e32 v[37:38], v[43:44], v[37:38]
	v_fma_f64 v[43:44], v[76:77], s[20:21], v[166:167]
	s_delay_alu instid0(VALU_DEP_1) | instskip(SKIP_1) | instid1(VALU_DEP_1)
	v_add_f64_e32 v[39:40], v[43:44], v[39:40]
	v_fma_f64 v[43:44], v[8:9], s[2:3], -v[168:169]
	v_add_f64_e32 v[37:38], v[43:44], v[37:38]
	v_fma_f64 v[43:44], v[10:11], s[2:3], v[170:171]
	s_delay_alu instid0(VALU_DEP_1) | instskip(SKIP_1) | instid1(VALU_DEP_1)
	v_add_f64_e32 v[39:40], v[43:44], v[39:40]
	v_fma_f64 v[43:44], v[4:5], s[30:31], -v[172:173]
	v_add_f64_e32 v[37:38], v[43:44], v[37:38]
	v_fma_f64 v[43:44], v[6:7], s[30:31], v[174:175]
	s_delay_alu instid0(VALU_DEP_1) | instskip(SKIP_1) | instid1(VALU_DEP_1)
	v_add_f64_e32 v[39:40], v[43:44], v[39:40]
	v_fma_f64 v[43:44], v[0:1], s[14:15], -v[176:177]
	v_add_f64_e32 v[37:38], v[43:44], v[37:38]
	v_fma_f64 v[43:44], v[2:3], s[14:15], v[178:179]
	s_delay_alu instid0(VALU_DEP_1) | instskip(SKIP_2) | instid1(VALU_DEP_2)
	v_add_f64_e32 v[39:40], v[43:44], v[39:40]
	v_fma_f64 v[43:44], v[86:87], s[30:31], -v[45:46]
	v_fma_f64 v[45:46], v[86:87], s[30:31], v[45:46]
	v_add_f64_e32 v[41:42], v[43:44], v[41:42]
	v_fma_f64 v[43:44], v[88:89], s[30:31], v[47:48]
	s_delay_alu instid0(VALU_DEP_3) | instskip(SKIP_1) | instid1(VALU_DEP_3)
	v_add_f64_e32 v[45:46], v[45:46], v[51:52]
	v_fma_f64 v[47:48], v[88:89], s[30:31], -v[47:48]
	v_add_f64_e32 v[43:44], v[43:44], v[64:65]
	v_mul_f64_e32 v[64:65], s[22:23], v[80:81]
	s_delay_alu instid0(VALU_DEP_3) | instskip(SKIP_1) | instid1(VALU_DEP_3)
	v_add_f64_e32 v[47:48], v[47:48], v[53:54]
	v_mul_f64_e32 v[80:81], s[26:27], v[80:81]
	v_fma_f64 v[180:181], v[49:50], s[12:13], -v[64:65]
	v_fma_f64 v[51:52], v[49:50], s[12:13], v[64:65]
	v_fma_f64 v[64:65], v[49:50], s[30:31], v[148:149]
	s_delay_alu instid0(VALU_DEP_3) | instskip(SKIP_1) | instid1(VALU_DEP_4)
	v_add_f64_e32 v[41:42], v[180:181], v[41:42]
	v_mul_f64_e32 v[180:181], s[22:23], v[78:79]
	v_add_f64_e32 v[45:46], v[51:52], v[45:46]
	v_mul_f64_e32 v[78:79], s[26:27], v[78:79]
	s_delay_alu instid0(VALU_DEP_3) | instskip(SKIP_1) | instid1(VALU_DEP_2)
	v_fma_f64 v[182:183], v[76:77], s[12:13], v[180:181]
	v_fma_f64 v[51:52], v[76:77], s[12:13], -v[180:181]
	v_add_f64_e32 v[43:44], v[182:183], v[43:44]
	v_mul_f64_e32 v[182:183], s[40:41], v[22:23]
	s_delay_alu instid0(VALU_DEP_3) | instskip(SKIP_1) | instid1(VALU_DEP_3)
	v_add_f64_e32 v[47:48], v[51:52], v[47:48]
	v_mul_f64_e32 v[22:23], s[24:25], v[22:23]
	v_fma_f64 v[184:185], v[8:9], s[20:21], -v[182:183]
	v_fma_f64 v[51:52], v[8:9], s[20:21], v[182:183]
	s_delay_alu instid0(VALU_DEP_2) | instskip(SKIP_1) | instid1(VALU_DEP_3)
	v_add_f64_e32 v[41:42], v[184:185], v[41:42]
	v_mul_f64_e32 v[184:185], s[40:41], v[20:21]
	v_add_f64_e32 v[45:46], v[51:52], v[45:46]
	v_mul_f64_e32 v[20:21], s[24:25], v[20:21]
	s_delay_alu instid0(VALU_DEP_3) | instskip(SKIP_1) | instid1(VALU_DEP_2)
	v_fma_f64 v[186:187], v[10:11], s[20:21], v[184:185]
	v_fma_f64 v[51:52], v[10:11], s[20:21], -v[184:185]
	v_add_f64_e32 v[43:44], v[186:187], v[43:44]
	v_mul_f64_e32 v[186:187], s[24:25], v[18:19]
	s_delay_alu instid0(VALU_DEP_3) | instskip(SKIP_1) | instid1(VALU_DEP_3)
	v_add_f64_e32 v[47:48], v[51:52], v[47:48]
	v_mul_f64_e32 v[18:19], s[22:23], v[18:19]
	v_fma_f64 v[188:189], v[4:5], s[14:15], -v[186:187]
	v_fma_f64 v[51:52], v[4:5], s[14:15], v[186:187]
	s_delay_alu instid0(VALU_DEP_2) | instskip(SKIP_1) | instid1(VALU_DEP_3)
	;; [unrolled: 15-line block ×3, first 2 shown]
	v_add_f64_e32 v[41:42], v[192:193], v[41:42]
	v_mul_f64_e32 v[192:193], s[36:37], v[12:13]
	v_add_f64_e32 v[45:46], v[51:52], v[45:46]
	v_fma_f64 v[51:52], v[86:87], s[18:19], v[164:165]
	v_mul_f64_e32 v[12:13], s[16:17], v[12:13]
	s_delay_alu instid0(VALU_DEP_4) | instskip(SKIP_1) | instid1(VALU_DEP_4)
	v_fma_f64 v[53:54], v[2:3], s[18:19], -v[192:193]
	v_fma_f64 v[194:195], v[2:3], s[18:19], v[192:193]
	v_add_f64_e32 v[51:52], v[51:52], v[94:95]
	s_delay_alu instid0(VALU_DEP_3) | instskip(SKIP_4) | instid1(VALU_DEP_4)
	v_add_f64_e32 v[47:48], v[53:54], v[47:48]
	v_fma_f64 v[53:54], v[88:89], s[18:19], -v[60:61]
	v_fma_f64 v[60:61], v[49:50], s[20:21], v[62:63]
	v_fma_f64 v[62:63], v[2:3], s[14:15], -v[178:179]
	v_add_f64_e32 v[43:44], v[194:195], v[43:44]
	v_add_f64_e32 v[53:54], v[53:54], v[72:73]
	s_delay_alu instid0(VALU_DEP_4) | instskip(SKIP_2) | instid1(VALU_DEP_2)
	v_add_f64_e32 v[51:52], v[60:61], v[51:52]
	v_fma_f64 v[60:61], v[76:77], s[20:21], -v[166:167]
	v_fma_f64 v[72:73], v[49:50], s[2:3], v[108:109]
	v_add_f64_e32 v[53:54], v[60:61], v[53:54]
	v_fma_f64 v[60:61], v[8:9], s[2:3], v[168:169]
	s_delay_alu instid0(VALU_DEP_1) | instskip(SKIP_1) | instid1(VALU_DEP_1)
	v_add_f64_e32 v[51:52], v[60:61], v[51:52]
	v_fma_f64 v[60:61], v[10:11], s[2:3], -v[170:171]
	v_add_f64_e32 v[53:54], v[60:61], v[53:54]
	v_fma_f64 v[60:61], v[4:5], s[30:31], v[172:173]
	s_delay_alu instid0(VALU_DEP_1) | instskip(SKIP_1) | instid1(VALU_DEP_1)
	v_add_f64_e32 v[51:52], v[60:61], v[51:52]
	v_fma_f64 v[60:61], v[6:7], s[30:31], -v[174:175]
	v_add_f64_e32 v[53:54], v[60:61], v[53:54]
	v_fma_f64 v[60:61], v[0:1], s[14:15], v[176:177]
	s_delay_alu instid0(VALU_DEP_2) | instskip(NEXT) | instid1(VALU_DEP_2)
	v_add_f64_e32 v[62:63], v[62:63], v[53:54]
	v_add_f64_e32 v[60:61], v[60:61], v[51:52]
	v_fma_f64 v[51:52], v[86:87], s[12:13], v[144:145]
	v_fma_f64 v[53:54], v[88:89], s[12:13], -v[146:147]
	s_delay_alu instid0(VALU_DEP_2) | instskip(NEXT) | instid1(VALU_DEP_2)
	v_add_f64_e32 v[51:52], v[51:52], v[66:67]
	v_add_f64_e32 v[53:54], v[53:54], v[70:71]
	v_fma_f64 v[66:67], v[2:3], s[20:21], -v[162:163]
	v_fma_f64 v[70:71], v[2:3], s[12:13], -v[142:143]
	s_delay_alu instid0(VALU_DEP_4) | instskip(SKIP_1) | instid1(VALU_DEP_1)
	v_add_f64_e32 v[51:52], v[64:65], v[51:52]
	v_fma_f64 v[64:65], v[76:77], s[30:31], -v[150:151]
	v_add_f64_e32 v[53:54], v[64:65], v[53:54]
	v_fma_f64 v[64:65], v[8:9], s[18:19], v[152:153]
                                        ; implicit-def: $vgpr152_vgpr153
	s_delay_alu instid0(VALU_DEP_1) | instskip(SKIP_1) | instid1(VALU_DEP_1)
	v_add_f64_e32 v[51:52], v[64:65], v[51:52]
	v_fma_f64 v[64:65], v[10:11], s[18:19], -v[154:155]
	v_add_f64_e32 v[53:54], v[64:65], v[53:54]
	v_fma_f64 v[64:65], v[4:5], s[2:3], v[156:157]
                                        ; implicit-def: $vgpr156_vgpr157
	s_delay_alu instid0(VALU_DEP_1) | instskip(SKIP_1) | instid1(VALU_DEP_1)
	v_add_f64_e32 v[51:52], v[64:65], v[51:52]
	v_fma_f64 v[64:65], v[6:7], s[2:3], -v[158:159]
	v_add_f64_e32 v[53:54], v[64:65], v[53:54]
	v_fma_f64 v[64:65], v[0:1], s[20:21], v[160:161]
                                        ; implicit-def: $vgpr160_vgpr161
	s_delay_alu instid0(VALU_DEP_2) | instskip(NEXT) | instid1(VALU_DEP_2)
	v_add_f64_e32 v[66:67], v[66:67], v[53:54]
	v_add_f64_e32 v[64:65], v[64:65], v[51:52]
	v_fma_f64 v[51:52], v[86:87], s[2:3], v[124:125]
	v_fma_f64 v[53:54], v[88:89], s[2:3], -v[126:127]
	s_delay_alu instid0(VALU_DEP_2) | instskip(NEXT) | instid1(VALU_DEP_2)
	v_add_f64_e32 v[51:52], v[51:52], v[92:93]
	v_add_f64_e32 v[53:54], v[53:54], v[68:69]
	v_fma_f64 v[68:69], v[49:50], s[14:15], v[128:129]
	s_delay_alu instid0(VALU_DEP_1) | instskip(SKIP_1) | instid1(VALU_DEP_1)
	v_add_f64_e32 v[51:52], v[68:69], v[51:52]
	v_fma_f64 v[68:69], v[76:77], s[14:15], -v[130:131]
	v_add_f64_e32 v[53:54], v[68:69], v[53:54]
	v_fma_f64 v[68:69], v[8:9], s[30:31], v[132:133]
	s_delay_alu instid0(VALU_DEP_1) | instskip(SKIP_1) | instid1(VALU_DEP_1)
	v_add_f64_e32 v[51:52], v[68:69], v[51:52]
	v_fma_f64 v[68:69], v[10:11], s[30:31], -v[134:135]
	;; [unrolled: 5-line block ×3, first 2 shown]
	v_add_f64_e32 v[53:54], v[68:69], v[53:54]
	v_fma_f64 v[68:69], v[0:1], s[12:13], v[140:141]
	s_delay_alu instid0(VALU_DEP_2) | instskip(NEXT) | instid1(VALU_DEP_2)
	v_add_f64_e32 v[70:71], v[70:71], v[53:54]
	v_add_f64_e32 v[68:69], v[68:69], v[51:52]
	v_fma_f64 v[51:52], v[86:87], s[14:15], v[96:97]
	v_fma_f64 v[53:54], v[88:89], s[14:15], -v[98:99]
	s_delay_alu instid0(VALU_DEP_2) | instskip(NEXT) | instid1(VALU_DEP_2)
	v_add_f64_e32 v[51:52], v[51:52], v[74:75]
	v_add_f64_e32 v[53:54], v[53:54], v[90:91]
	v_fma_f64 v[74:75], v[2:3], s[30:31], -v[122:123]
	v_fma_f64 v[90:91], v[49:50], s[18:19], v[80:81]
	v_fma_f64 v[49:50], v[49:50], s[18:19], -v[80:81]
	v_add_f64_e32 v[51:52], v[72:73], v[51:52]
	v_fma_f64 v[72:73], v[76:77], s[2:3], -v[110:111]
	s_delay_alu instid0(VALU_DEP_1) | instskip(SKIP_1) | instid1(VALU_DEP_1)
	v_add_f64_e32 v[53:54], v[72:73], v[53:54]
	v_fma_f64 v[72:73], v[8:9], s[12:13], v[112:113]
	v_add_f64_e32 v[51:52], v[72:73], v[51:52]
	v_fma_f64 v[72:73], v[10:11], s[12:13], -v[114:115]
	s_delay_alu instid0(VALU_DEP_1) | instskip(SKIP_1) | instid1(VALU_DEP_1)
	v_add_f64_e32 v[53:54], v[72:73], v[53:54]
	v_fma_f64 v[72:73], v[4:5], s[18:19], v[116:117]
	v_add_f64_e32 v[51:52], v[72:73], v[51:52]
	v_fma_f64 v[72:73], v[6:7], s[18:19], -v[118:119]
	s_delay_alu instid0(VALU_DEP_1) | instskip(SKIP_1) | instid1(VALU_DEP_2)
	v_add_f64_e32 v[53:54], v[72:73], v[53:54]
	v_fma_f64 v[72:73], v[0:1], s[30:31], v[120:121]
	v_add_f64_e32 v[74:75], v[74:75], v[53:54]
	s_delay_alu instid0(VALU_DEP_2) | instskip(SKIP_4) | instid1(VALU_DEP_4)
	v_add_f64_e32 v[72:73], v[72:73], v[51:52]
	v_fma_f64 v[51:52], v[86:87], s[20:21], v[82:83]
	v_fma_f64 v[53:54], v[88:89], s[20:21], -v[84:85]
	v_fma_f64 v[82:83], v[86:87], s[20:21], -v[82:83]
	v_fma_f64 v[84:85], v[88:89], s[20:21], v[84:85]
	v_add_f64_e32 v[51:52], v[51:52], v[104:105]
	s_delay_alu instid0(VALU_DEP_4) | instskip(NEXT) | instid1(VALU_DEP_3)
	v_add_f64_e32 v[53:54], v[53:54], v[106:107]
	v_add_f64_e32 v[80:81], v[84:85], v[102:103]
	s_delay_alu instid0(VALU_DEP_3) | instskip(SKIP_3) | instid1(VALU_DEP_3)
	v_add_f64_e32 v[51:52], v[90:91], v[51:52]
	v_fma_f64 v[90:91], v[76:77], s[18:19], -v[78:79]
	v_fma_f64 v[76:77], v[76:77], s[18:19], v[78:79]
	v_add_f64_e32 v[78:79], v[82:83], v[100:101]
	v_add_f64_e32 v[53:54], v[90:91], v[53:54]
	v_fma_f64 v[90:91], v[8:9], s[14:15], v[22:23]
	v_fma_f64 v[8:9], v[8:9], s[14:15], -v[22:23]
	v_add_f64_e32 v[22:23], v[76:77], v[80:81]
	s_delay_alu instid0(VALU_DEP_3) | instskip(SKIP_3) | instid1(VALU_DEP_3)
	v_add_f64_e32 v[51:52], v[90:91], v[51:52]
	v_fma_f64 v[90:91], v[10:11], s[14:15], -v[20:21]
	v_fma_f64 v[10:11], v[10:11], s[14:15], v[20:21]
	v_add_f64_e32 v[20:21], v[49:50], v[78:79]
	v_add_f64_e32 v[53:54], v[90:91], v[53:54]
	v_fma_f64 v[90:91], v[4:5], s[12:13], v[18:19]
	v_fma_f64 v[4:5], v[4:5], s[12:13], -v[18:19]
	s_delay_alu instid0(VALU_DEP_4) | instskip(SKIP_1) | instid1(VALU_DEP_4)
	v_add_f64_e32 v[8:9], v[8:9], v[20:21]
	v_add_f64_e32 v[10:11], v[10:11], v[22:23]
	;; [unrolled: 1-line block ×3, first 2 shown]
	v_fma_f64 v[90:91], v[6:7], s[12:13], -v[16:17]
	v_fma_f64 v[6:7], v[6:7], s[12:13], v[16:17]
	v_add_f64_e32 v[4:5], v[4:5], v[8:9]
	s_delay_alu instid0(VALU_DEP_3) | instskip(SKIP_3) | instid1(VALU_DEP_3)
	v_add_f64_e32 v[54:55], v[90:91], v[53:54]
	v_fma_f64 v[90:91], v[0:1], s[2:3], v[14:15]
	v_fma_f64 v[0:1], v[0:1], s[2:3], -v[14:15]
	v_add_f64_e32 v[6:7], v[6:7], v[10:11]
	v_add_f64_e32 v[52:53], v[90:91], v[51:52]
	v_fma_f64 v[90:91], v[2:3], s[2:3], -v[12:13]
	v_fma_f64 v[2:3], v[2:3], s[2:3], v[12:13]
	v_add_f64_e32 v[0:1], v[0:1], v[4:5]
	v_mul_lo_u16 v4, v24, 13
	s_load_b64 s[2:3], s[0:1], 0x38
	s_delay_alu instid0(VALU_DEP_1) | instskip(NEXT) | instid1(VALU_DEP_1)
	v_and_b32_e32 v4, 0xffff, v4
	v_lshl_add_u32 v232, v4, 4, v196
	v_add_f64_e32 v[54:55], v[90:91], v[54:55]
	v_add_f64_e32 v[2:3], v[2:3], v[6:7]
	ds_store_b128 v232, v[25:28] offset:32
	ds_store_b128 v232, v[29:32] offset:48
	;; [unrolled: 1-line block ×12, first 2 shown]
	ds_store_b128 v232, v[56:59]
	global_wb scope:SCOPE_SE
	s_wait_dscnt 0x0
	s_wait_kmcnt 0x0
	s_barrier_signal -1
	s_barrier_wait -1
	global_inv scope:SCOPE_SE
	ds_load_b128 v[64:67], v255
	ds_load_b128 v[56:59], v255 offset:1088
	ds_load_b128 v[84:87], v255 offset:7072
	;; [unrolled: 1-line block ×11, first 2 shown]
	s_and_saveexec_b32 s0, vcc_lo
	s_cbranch_execz .LBB0_3
; %bb.2:
	ds_load_b128 v[52:55], v255 offset:3264
	ds_load_b128 v[152:155], v255 offset:6800
	;; [unrolled: 1-line block ×4, first 2 shown]
.LBB0_3:
	s_wait_alu 0xfffe
	s_or_b32 exec_lo, exec_lo, s0
	scratch_load_b32 v7, off, off           ; 4-byte Folded Reload
	s_wait_loadcnt 0x0
	v_and_b32_e32 v0, 0xff, v7
	v_add_nc_u16 v1, v7, 0x44
	v_add_nc_u16 v2, v7, 0x88
	v_add_nc_u16 v3, v7, 0xcc
	s_delay_alu instid0(VALU_DEP_4) | instskip(NEXT) | instid1(VALU_DEP_4)
	v_mul_lo_u16 v0, 0x4f, v0
	v_and_b32_e32 v4, 0xff, v1
	s_delay_alu instid0(VALU_DEP_4) | instskip(NEXT) | instid1(VALU_DEP_4)
	v_and_b32_e32 v5, 0xff, v2
	v_and_b32_e32 v6, 0xffff, v3
	s_delay_alu instid0(VALU_DEP_4) | instskip(NEXT) | instid1(VALU_DEP_4)
	v_lshrrev_b16 v200, 10, v0
	v_mul_lo_u16 v0, 0x4f, v4
	s_delay_alu instid0(VALU_DEP_4) | instskip(NEXT) | instid1(VALU_DEP_4)
	v_mul_lo_u16 v4, 0x4f, v5
	v_mul_u32_u24_e32 v5, 0x4ec5, v6
	s_delay_alu instid0(VALU_DEP_4) | instskip(NEXT) | instid1(VALU_DEP_4)
	v_mul_lo_u16 v6, v200, 13
	v_lshrrev_b16 v201, 10, v0
	s_delay_alu instid0(VALU_DEP_4) | instskip(NEXT) | instid1(VALU_DEP_4)
	v_lshrrev_b16 v202, 10, v4
	v_lshrrev_b32_e32 v8, 18, v5
	s_delay_alu instid0(VALU_DEP_4) | instskip(NEXT) | instid1(VALU_DEP_4)
	v_sub_nc_u16 v0, v7, v6
	v_mul_lo_u16 v4, v201, 13
	s_delay_alu instid0(VALU_DEP_4) | instskip(NEXT) | instid1(VALU_DEP_4)
	v_mul_lo_u16 v5, v202, 13
	v_mul_lo_u16 v6, v8, 13
	s_delay_alu instid0(VALU_DEP_4) | instskip(NEXT) | instid1(VALU_DEP_4)
	v_and_b32_e32 v203, 0xff, v0
	v_sub_nc_u16 v4, v1, v4
	s_delay_alu instid0(VALU_DEP_4) | instskip(NEXT) | instid1(VALU_DEP_4)
	v_sub_nc_u16 v2, v2, v5
	v_sub_nc_u16 v3, v3, v6
	scratch_store_b32 off, v8, off offset:240 ; 4-byte Folded Spill
	v_mad_co_u64_u32 v[0:1], null, v203, 48, s[10:11]
	v_and_b32_e32 v204, 0xff, v4
	scratch_store_b32 off, v3, off offset:244 ; 4-byte Folded Spill
	v_mul_lo_u16 v6, v3, 48
	v_and_b32_e32 v205, 0xff, v2
	v_mad_co_u64_u32 v[2:3], null, v204, 48, s[10:11]
	s_clause 0x2
	global_load_b128 v[136:139], v[0:1], off
	global_load_b128 v[132:135], v[0:1], off offset:16
	global_load_b128 v[128:131], v[0:1], off offset:32
	v_and_b32_e32 v0, 0xffff, v6
	v_mad_co_u64_u32 v[4:5], null, v205, 48, s[10:11]
	s_clause 0x3
	global_load_b128 v[124:127], v[2:3], off
	global_load_b128 v[116:119], v[2:3], off offset:32
	global_load_b128 v[120:123], v[2:3], off offset:16
	global_load_b128 v[100:103], v[4:5], off
	v_add_co_u32 v0, s0, s10, v0
	s_wait_alu 0xf1ff
	v_add_co_ci_u32_e64 v1, null, s11, 0, s0
	s_clause 0x4
	global_load_b128 v[104:107], v[4:5], off offset:16
	global_load_b128 v[96:99], v[4:5], off offset:32
	global_load_b128 v[112:115], v[0:1], off
	global_load_b128 v[108:111], v[0:1], off offset:16
	global_load_b128 v[92:95], v[0:1], off offset:32
	s_wait_loadcnt_dscnt 0xa09
	v_mul_f64_e32 v[6:7], v[84:85], v[134:135]
	s_wait_dscnt 0x7
	v_mul_f64_e32 v[2:3], v[144:145], v[138:139]
	s_wait_loadcnt_dscnt 0x903
	v_mul_f64_e32 v[10:11], v[148:149], v[130:131]
	v_mul_f64_e32 v[0:1], v[146:147], v[138:139]
	;; [unrolled: 1-line block ×4, first 2 shown]
	s_wait_loadcnt 0x8
	v_mul_f64_e32 v[12:13], v[90:91], v[126:127]
	v_mul_f64_e32 v[14:15], v[88:89], v[126:127]
	s_wait_loadcnt 0x6
	v_mul_f64_e32 v[16:17], v[70:71], v[122:123]
	v_mul_f64_e32 v[18:19], v[68:69], v[122:123]
	s_wait_dscnt 0x1
	v_mul_f64_e32 v[20:21], v[142:143], v[118:119]
	v_mul_f64_e32 v[22:23], v[140:141], v[118:119]
	s_wait_loadcnt 0x5
	v_mul_f64_e32 v[24:25], v[74:75], v[102:103]
	v_mul_f64_e32 v[26:27], v[72:73], v[102:103]
	s_wait_loadcnt 0x4
	v_mul_f64_e32 v[28:29], v[78:79], v[106:107]
	v_mul_f64_e32 v[30:31], v[76:77], v[106:107]
	s_wait_loadcnt_dscnt 0x300
	v_mul_f64_e32 v[32:33], v[82:83], v[98:99]
	v_mul_f64_e32 v[34:35], v[80:81], v[98:99]
	s_wait_loadcnt 0x2
	v_mul_f64_e32 v[36:37], v[154:155], v[114:115]
	v_mul_f64_e32 v[38:39], v[152:153], v[114:115]
	s_wait_loadcnt 0x1
	;; [unrolled: 3-line block ×3, first 2 shown]
	v_mul_f64_e32 v[44:45], v[162:163], v[94:95]
	v_mul_f64_e32 v[46:47], v[160:161], v[94:95]
	v_fma_f64 v[6:7], v[86:87], v[132:133], v[6:7]
	v_fma_f64 v[2:3], v[146:147], v[136:137], v[2:3]
	;; [unrolled: 1-line block ×3, first 2 shown]
	v_fma_f64 v[0:1], v[144:145], v[136:137], -v[0:1]
	v_fma_f64 v[4:5], v[84:85], v[132:133], -v[4:5]
	;; [unrolled: 1-line block ×4, first 2 shown]
	v_fma_f64 v[14:15], v[90:91], v[124:125], v[14:15]
	v_fma_f64 v[16:17], v[68:69], v[120:121], -v[16:17]
	v_fma_f64 v[18:19], v[70:71], v[120:121], v[18:19]
	v_fma_f64 v[20:21], v[140:141], v[116:117], -v[20:21]
	;; [unrolled: 2-line block ×8, first 2 shown]
	v_fma_f64 v[46:47], v[162:163], v[92:93], v[46:47]
	v_add_f64_e64 v[6:7], v[66:67], -v[6:7]
	v_add_f64_e64 v[10:11], v[2:3], -v[10:11]
	;; [unrolled: 1-line block ×16, first 2 shown]
	v_fma_f64 v[50:51], v[66:67], 2.0, -v[6:7]
	v_fma_f64 v[2:3], v[2:3], 2.0, -v[10:11]
	v_fma_f64 v[48:49], v[64:65], 2.0, -v[4:5]
	v_fma_f64 v[0:1], v[0:1], 2.0, -v[8:9]
	v_add_f64_e64 v[140:141], v[4:5], -v[10:11]
	v_add_f64_e32 v[142:143], v[6:7], v[8:9]
	v_fma_f64 v[56:57], v[56:57], 2.0, -v[16:17]
	v_fma_f64 v[58:59], v[58:59], 2.0, -v[18:19]
	v_fma_f64 v[12:13], v[12:13], 2.0, -v[20:21]
	v_fma_f64 v[14:15], v[14:15], 2.0, -v[22:23]
	v_add_f64_e64 v[152:153], v[16:17], -v[22:23]
	v_add_f64_e32 v[154:155], v[18:19], v[20:21]
	;; [unrolled: 6-line block ×4, first 2 shown]
	v_add_f64_e64 v[146:147], v[50:51], -v[2:3]
	scratch_load_b32 v3, off, off offset:4  ; 4-byte Folded Reload
	v_and_b32_e32 v2, 0xffff, v202
	v_add_f64_e64 v[144:145], v[48:49], -v[0:1]
	v_fma_f64 v[176:177], v[4:5], 2.0, -v[140:141]
	v_fma_f64 v[178:179], v[6:7], 2.0, -v[142:143]
	v_and_b32_e32 v0, 0xffff, v200
	v_and_b32_e32 v1, 0xffff, v201
	v_add_f64_e64 v[148:149], v[56:57], -v[12:13]
	v_add_f64_e64 v[150:151], v[58:59], -v[14:15]
	v_fma_f64 v[88:89], v[16:17], 2.0, -v[152:153]
	v_fma_f64 v[90:91], v[18:19], 2.0, -v[154:155]
	v_mul_u32_u24_e32 v0, 52, v0
	v_mul_u32_u24_e32 v1, 52, v1
	v_add_f64_e64 v[172:173], v[60:61], -v[24:25]
	v_add_f64_e64 v[174:175], v[62:63], -v[26:27]
	v_fma_f64 v[168:169], v[28:29], 2.0, -v[156:157]
	v_fma_f64 v[170:171], v[30:31], 2.0, -v[158:159]
	v_mul_u32_u24_e32 v2, 52, v2
	v_add_nc_u32_e32 v0, v0, v203
	v_add_f64_e64 v[192:193], v[52:53], -v[36:37]
	v_add_f64_e64 v[194:195], v[54:55], -v[38:39]
	v_fma_f64 v[188:189], v[40:41], 2.0, -v[196:197]
	v_fma_f64 v[190:191], v[42:43], 2.0, -v[198:199]
	v_add_nc_u32_e32 v1, v1, v204
	v_add_nc_u32_e32 v2, v2, v205
	global_wb scope:SCOPE_SE
	s_wait_loadcnt 0x0
	s_wait_storecnt 0x0
	s_barrier_signal -1
	s_barrier_wait -1
	global_inv scope:SCOPE_SE
	v_fma_f64 v[182:183], v[50:51], 2.0, -v[146:147]
	v_fma_f64 v[180:181], v[48:49], 2.0, -v[144:145]
	;; [unrolled: 1-line block ×8, first 2 shown]
	v_lshl_add_u32 v4, v0, 4, v3
	v_lshl_add_u32 v1, v1, 4, v3
	;; [unrolled: 1-line block ×3, first 2 shown]
	ds_store_b128 v4, v[144:147] offset:416
	ds_store_b128 v4, v[140:143] offset:624
	ds_store_b128 v4, v[180:183]
	scratch_store_b32 off, v4, off offset:256 ; 4-byte Folded Spill
	ds_store_b128 v4, v[176:179] offset:208
	ds_store_b128 v1, v[148:151] offset:416
	;; [unrolled: 1-line block ×3, first 2 shown]
	ds_store_b128 v1, v[184:187]
	scratch_store_b32 off, v1, off offset:252 ; 4-byte Folded Spill
	ds_store_b128 v1, v[88:91] offset:208
	ds_store_b128 v0, v[164:167]
	ds_store_b128 v0, v[168:171] offset:208
	ds_store_b128 v0, v[172:175] offset:416
	scratch_store_b32 off, v0, off offset:248 ; 4-byte Folded Spill
	ds_store_b128 v0, v[156:159] offset:624
	s_and_saveexec_b32 s0, vcc_lo
	s_cbranch_execz .LBB0_5
; %bb.4:
	s_clause 0x1
	scratch_load_b32 v0, off, off offset:240
	scratch_load_b32 v1, off, off offset:244
	s_wait_loadcnt 0x0
	v_mad_u16 v0, v0, 52, v1
	scratch_load_b32 v1, off, off offset:4  ; 4-byte Folded Reload
	v_and_b32_e32 v0, 0xffff, v0
	s_wait_loadcnt 0x0
	s_delay_alu instid0(VALU_DEP_1)
	v_lshl_add_u32 v0, v0, 4, v1
	ds_store_b128 v0, v[160:163]
	ds_store_b128 v0, v[188:191] offset:208
	ds_store_b128 v0, v[192:195] offset:416
	;; [unrolled: 1-line block ×3, first 2 shown]
.LBB0_5:
	s_wait_alu 0xfffe
	s_or_b32 exec_lo, exec_lo, s0
	scratch_load_b32 v0, off, off           ; 4-byte Folded Reload
	v_add_co_u32 v204, s0, s8, v206
	s_wait_alu 0xf1ff
	v_add_co_ci_u32_e64 v205, null, s9, 0, s0
	global_wb scope:SCOPE_SE
	s_wait_storecnt 0x0
	s_wait_loadcnt_dscnt 0x0
	s_barrier_signal -1
	s_barrier_wait -1
	global_inv scope:SCOPE_SE
                                        ; implicit-def: $vgpr200_vgpr201
	v_cmp_gt_u16_e64 s0, 52, v0
	s_delay_alu instid0(VALU_DEP_1)
	s_and_saveexec_b32 s1, s0
	s_cbranch_execz .LBB0_7
; %bb.6:
	ds_load_b128 v[180:183], v255
	ds_load_b128 v[176:179], v255 offset:832
	ds_load_b128 v[144:147], v255 offset:1664
	;; [unrolled: 1-line block ×16, first 2 shown]
.LBB0_7:
	s_wait_alu 0xfffe
	s_or_b32 exec_lo, exec_lo, s1
	v_add_co_u32 v0, s1, 0xfffffcc0, v206
	s_wait_alu 0xf1ff
	v_add_co_ci_u32_e64 v1, null, 0, -1, s1
	s_mov_b32 s14, 0x5d8e7cdc
	s_delay_alu instid0(VALU_DEP_2) | instskip(SKIP_1) | instid1(VALU_DEP_2)
	v_cndmask_b32_e64 v0, v0, v206, s0
	s_mov_b32 s15, 0xbfd71e95
	v_cndmask_b32_e64 v1, v1, 0, s0
	s_mov_b32 s12, 0x370991
	s_mov_b32 s18, 0x2a9d6da3
	;; [unrolled: 1-line block ×4, first 2 shown]
	v_lshlrev_b64_e32 v[0:1], 4, v[0:1]
	s_mov_b32 s16, 0x75d4884
	s_mov_b32 s17, 0x3fe7a5f6
	;; [unrolled: 1-line block ×5, first 2 shown]
	v_add_co_u32 v0, s1, s10, v0
	s_wait_alu 0xf1ff
	v_add_co_ci_u32_e64 v1, s1, s11, v1, s1
	s_mov_b32 s39, 0xbfefdd0d
	s_mov_b32 s10, 0x2b2883cd
	;; [unrolled: 1-line block ×3, first 2 shown]
	s_clause 0x8
	global_load_b128 v[30:33], v[0:1], off offset:624
	global_load_b128 v[34:37], v[0:1], off offset:864
	;; [unrolled: 1-line block ×9, first 2 shown]
	s_mov_b32 s22, 0x3259b75e
	s_mov_b32 s23, 0x3fb79ee6
	;; [unrolled: 1-line block ×23, first 2 shown]
	s_wait_alu 0xfffe
	s_mov_b32 s42, s34
	s_mov_b32 s53, 0x3fd71e95
	;; [unrolled: 1-line block ×9, first 2 shown]
	s_wait_loadcnt_dscnt 0x80f
	v_mul_f64_e32 v[4:5], v[176:177], v[32:33]
	v_mul_f64_e32 v[2:3], v[178:179], v[32:33]
	s_wait_loadcnt_dscnt 0x700
	v_mul_f64_e32 v[6:7], v[200:201], v[36:37]
	v_mul_f64_e32 v[8:9], v[202:203], v[36:37]
	scratch_store_b128 off, v[30:33], off offset:340 ; 16-byte Folded Spill
	s_wait_loadcnt 0x6
	scratch_store_b128 off, v[10:13], off offset:260 ; 16-byte Folded Spill
	s_wait_loadcnt 0x5
	s_clause 0x1
	scratch_store_b128 off, v[14:17], off offset:276
	scratch_store_b128 off, v[34:37], off offset:356
	s_wait_loadcnt 0x2
	s_clause 0x2
	scratch_store_b128 off, v[38:41], off offset:372
	scratch_store_b128 off, v[22:25], off offset:308
	;; [unrolled: 1-line block ×3, first 2 shown]
	s_wait_loadcnt 0x1
	scratch_store_b128 off, v[26:29], off offset:324 ; 16-byte Folded Spill
	s_wait_loadcnt 0x0
	scratch_store_b128 off, v[42:45], off offset:388 ; 16-byte Folded Spill
	v_fma_f64 v[249:250], v[178:179], v[30:31], v[4:5]
	v_mul_f64_e32 v[4:5], v[144:145], v[12:13]
	v_fma_f64 v[247:248], v[176:177], v[30:31], -v[2:3]
	v_mul_f64_e32 v[2:3], v[146:147], v[12:13]
	v_fma_f64 v[62:63], v[202:203], v[34:35], v[6:7]
	v_fma_f64 v[60:61], v[200:201], v[34:35], -v[8:9]
	v_mul_f64_e32 v[6:7], v[196:197], v[16:17]
	v_mul_f64_e32 v[8:9], v[198:199], v[16:17]
	v_fma_f64 v[30:31], v[146:147], v[10:11], v[4:5]
	v_mul_f64_e32 v[4:5], v[140:141], v[24:25]
	v_fma_f64 v[207:208], v[144:145], v[10:11], -v[2:3]
	v_mul_f64_e32 v[2:3], v[142:143], v[24:25]
	global_load_b128 v[10:13], v[0:1], off offset:704
	v_fma_f64 v[198:199], v[198:199], v[14:15], v[6:7]
	v_fma_f64 v[146:147], v[196:197], v[14:15], -v[8:9]
	v_mul_f64_e32 v[6:7], v[194:195], v[20:21]
	v_mul_f64_e32 v[8:9], v[192:193], v[20:21]
	v_add_f64_e64 v[76:77], v[249:250], -v[62:63]
	v_add_f64_e64 v[82:83], v[247:248], -v[60:61]
	v_add_f64_e32 v[80:81], v[249:250], v[62:63]
	v_fma_f64 v[14:15], v[142:143], v[22:23], v[4:5]
	v_mul_f64_e32 v[4:5], v[184:185], v[40:41]
	v_fma_f64 v[196:197], v[140:141], v[22:23], -v[2:3]
	v_mul_f64_e32 v[2:3], v[186:187], v[40:41]
	v_add_f64_e64 v[22:23], v[30:31], -v[198:199]
	v_add_f64_e32 v[251:252], v[207:208], v[146:147]
	v_fma_f64 v[140:141], v[192:193], v[18:19], -v[6:7]
	v_mul_f64_e32 v[6:7], v[190:191], v[28:29]
	v_fma_f64 v[192:193], v[194:195], v[18:19], v[8:9]
	v_mul_f64_e32 v[8:9], v[188:189], v[28:29]
	v_mul_f64_e32 v[78:79], s[14:15], v[82:83]
	;; [unrolled: 1-line block ×5, first 2 shown]
	v_fma_f64 v[16:17], v[186:187], v[38:39], v[4:5]
	v_mul_f64_e32 v[4:5], v[88:89], v[44:45]
	v_fma_f64 v[194:195], v[184:185], v[38:39], -v[2:3]
	v_mul_f64_e32 v[2:3], v[90:91], v[44:45]
	v_add_f64_e32 v[186:187], v[247:248], v[60:61]
	v_mul_f64_e32 v[184:185], s[14:15], v[76:77]
	v_fma_f64 v[18:19], v[188:189], v[26:27], -v[6:7]
	v_add_f64_e64 v[44:45], v[207:208], -v[146:147]
	v_fma_f64 v[20:21], v[190:191], v[26:27], v[8:9]
	v_add_f64_e64 v[26:27], v[14:15], -v[192:193]
	v_add_f64_e64 v[40:41], v[196:197], -v[140:141]
	v_fma_f64 v[28:29], v[90:91], v[42:43], v[4:5]
	s_clause 0x1
	global_load_b128 v[142:145], v[0:1], off offset:800
	global_load_b128 v[4:7], v[0:1], off offset:784
	v_fma_f64 v[24:25], v[88:89], v[42:43], -v[2:3]
	v_mul_f64_e32 v[88:89], s[34:35], v[76:77]
	v_mul_f64_e32 v[90:91], s[34:35], v[82:83]
	;; [unrolled: 1-line block ×6, first 2 shown]
	s_wait_loadcnt 0x2
	scratch_store_b128 off, v[10:13], off offset:404 ; 16-byte Folded Spill
	s_wait_loadcnt 0x1
	v_mul_f64_e32 v[2:3], v[162:163], v[144:145]
	s_wait_loadcnt 0x0
	scratch_store_b128 off, v[4:7], off offset:420 ; 16-byte Folded Spill
	v_fma_f64 v[34:35], v[160:161], v[142:143], -v[2:3]
	v_mul_f64_e32 v[2:3], v[160:161], v[144:145]
	s_delay_alu instid0(VALU_DEP_2) | instskip(NEXT) | instid1(VALU_DEP_2)
	v_add_f64_e64 v[36:37], v[24:25], -v[34:35]
	v_fma_f64 v[38:39], v[162:163], v[142:143], v[2:3]
	v_mul_f64_e32 v[2:3], v[150:151], v[12:13]
	s_delay_alu instid0(VALU_DEP_3) | instskip(NEXT) | instid1(VALU_DEP_3)
	v_mul_f64_e32 v[228:229], s[50:51], v[36:37]
	v_add_f64_e64 v[32:33], v[28:29], -v[38:39]
	s_delay_alu instid0(VALU_DEP_3) | instskip(SKIP_4) | instid1(VALU_DEP_4)
	v_fma_f64 v[48:49], v[148:149], v[10:11], -v[2:3]
	v_mul_f64_e32 v[2:3], v[148:149], v[12:13]
	v_add_f64_e32 v[12:13], v[14:15], v[192:193]
	v_mul_f64_e32 v[72:73], s[46:47], v[36:37]
	v_mul_f64_e32 v[190:191], s[34:35], v[32:33]
	v_fma_f64 v[50:51], v[150:151], v[10:11], v[2:3]
	v_mul_f64_e32 v[2:3], v[158:159], v[6:7]
	s_delay_alu instid0(VALU_DEP_1) | instskip(SKIP_2) | instid1(VALU_DEP_2)
	v_fma_f64 v[42:43], v[156:157], v[4:5], -v[2:3]
	v_mul_f64_e32 v[2:3], v[156:157], v[6:7]
	v_mul_f64_e32 v[6:7], s[18:19], v[44:45]
	v_fma_f64 v[46:47], v[158:159], v[4:5], v[2:3]
	s_clause 0x1
	global_load_b128 v[148:151], v[0:1], off offset:720
	global_load_b128 v[156:159], v[0:1], off offset:736
	v_add_f64_e32 v[4:5], v[30:31], v[198:199]
	s_delay_alu instid0(VALU_DEP_1) | instskip(SKIP_2) | instid1(VALU_DEP_1)
	v_fma_f64 v[176:177], v[4:5], s[30:31], -v[212:213]
	s_wait_loadcnt 0x1
	v_mul_f64_e32 v[2:3], v[154:155], v[150:151]
	v_fma_f64 v[52:53], v[152:153], v[148:149], -v[2:3]
	v_mul_f64_e32 v[2:3], v[152:153], v[150:151]
	s_delay_alu instid0(VALU_DEP_1)
	v_fma_f64 v[54:55], v[154:155], v[148:149], v[2:3]
	s_clause 0x1
	global_load_b128 v[152:155], v[0:1], off offset:768
	global_load_b128 v[160:163], v[0:1], off offset:752
	v_mul_f64_e32 v[2:3], s[18:19], v[22:23]
	s_clause 0x2
	scratch_store_b64 off, v[30:31], off offset:436
	scratch_store_b64 off, v[14:15], off offset:444
	;; [unrolled: 1-line block ×3, first 2 shown]
	v_add_f64_e64 v[14:15], v[16:17], -v[20:21]
	scratch_store_b64 off, v[8:9], off offset:612 ; 8-byte Folded Spill
	v_add_f64_e32 v[30:31], v[48:49], v[42:43]
	scratch_store_b64 off, v[2:3], off offset:604 ; 8-byte Folded Spill
	v_fma_f64 v[2:3], v[251:252], s[16:17], v[2:3]
	v_mul_f64_e32 v[10:11], s[38:39], v[14:15]
	scratch_store_b64 off, v[6:7], off offset:620 ; 8-byte Folded Spill
	v_fma_f64 v[6:7], v[4:5], s[16:17], -v[6:7]
	v_mul_f64_e32 v[210:211], s[52:53], v[14:15]
	scratch_store_b64 off, v[10:11], off offset:628 ; 8-byte Folded Spill
	s_wait_loadcnt 0x1
	v_mul_f64_e32 v[0:1], v[174:175], v[154:155]
	s_delay_alu instid0(VALU_DEP_1) | instskip(SKIP_1) | instid1(VALU_DEP_1)
	v_fma_f64 v[56:57], v[172:173], v[152:153], -v[0:1]
	v_mul_f64_e32 v[0:1], v[172:173], v[154:155]
	v_fma_f64 v[58:59], v[174:175], v[152:153], v[0:1]
	v_mul_f64_e32 v[0:1], v[166:167], v[158:159]
	s_delay_alu instid0(VALU_DEP_1) | instskip(SKIP_1) | instid1(VALU_DEP_1)
	v_fma_f64 v[66:67], v[164:165], v[156:157], -v[0:1]
	v_mul_f64_e32 v[0:1], v[164:165], v[158:159]
	v_fma_f64 v[70:71], v[166:167], v[156:157], v[0:1]
	s_wait_loadcnt 0x0
	v_mul_f64_e32 v[0:1], v[170:171], v[162:163]
	s_delay_alu instid0(VALU_DEP_1) | instskip(SKIP_1) | instid1(VALU_DEP_2)
	v_fma_f64 v[64:65], v[168:169], v[160:161], -v[0:1]
	v_mul_f64_e32 v[0:1], v[168:169], v[162:163]
	v_add_f64_e64 v[253:254], v[66:67], -v[64:65]
	s_delay_alu instid0(VALU_DEP_2) | instskip(SKIP_1) | instid1(VALU_DEP_3)
	v_fma_f64 v[68:69], v[170:171], v[160:161], v[0:1]
	v_fma_f64 v[0:1], v[186:187], s[12:13], v[184:185]
	v_mul_f64_e32 v[218:219], s[52:53], v[253:254]
	v_mul_f64_e32 v[224:225], s[48:49], v[253:254]
	s_delay_alu instid0(VALU_DEP_3) | instskip(SKIP_1) | instid1(VALU_DEP_2)
	v_add_f64_e32 v[0:1], v[180:181], v[0:1]
	v_mul_f64_e32 v[237:238], s[46:47], v[253:254]
	v_add_f64_e32 v[2:3], v[2:3], v[0:1]
	v_fma_f64 v[0:1], v[80:81], s[12:13], -v[78:79]
	s_delay_alu instid0(VALU_DEP_1) | instskip(NEXT) | instid1(VALU_DEP_1)
	v_add_f64_e32 v[0:1], v[182:183], v[0:1]
	v_add_f64_e32 v[6:7], v[6:7], v[0:1]
	;; [unrolled: 1-line block ×3, first 2 shown]
	s_delay_alu instid0(VALU_DEP_1) | instskip(NEXT) | instid1(VALU_DEP_1)
	v_fma_f64 v[8:9], v[0:1], s[10:11], v[8:9]
	v_add_f64_e32 v[2:3], v[8:9], v[2:3]
	v_mul_f64_e32 v[8:9], s[34:35], v[40:41]
	scratch_store_b64 off, v[8:9], off offset:636 ; 8-byte Folded Spill
	v_fma_f64 v[8:9], v[12:13], s[10:11], -v[8:9]
	s_clause 0x1
	scratch_store_b64 off, v[16:17], off offset:452
	scratch_store_b64 off, v[20:21], off offset:468
	v_add_f64_e32 v[20:21], v[16:17], v[20:21]
	v_add_f64_e32 v[6:7], v[8:9], v[6:7]
	;; [unrolled: 1-line block ×3, first 2 shown]
	s_delay_alu instid0(VALU_DEP_1) | instskip(NEXT) | instid1(VALU_DEP_1)
	v_fma_f64 v[10:11], v[8:9], s[22:23], v[10:11]
	v_add_f64_e32 v[2:3], v[10:11], v[2:3]
	v_add_f64_e64 v[10:11], v[194:195], -v[18:19]
	v_mul_f64_e32 v[18:19], s[24:25], v[32:33]
	s_delay_alu instid0(VALU_DEP_2)
	v_mul_f64_e32 v[16:17], s[38:39], v[10:11]
	v_mul_f64_e32 v[188:189], s[40:41], v[10:11]
	;; [unrolled: 1-line block ×3, first 2 shown]
	s_clause 0x1
	scratch_store_b64 off, v[18:19], off offset:644
	scratch_store_b64 off, v[16:17], off offset:652
	v_fma_f64 v[16:17], v[20:21], s[22:23], -v[16:17]
	s_clause 0x3
	scratch_store_b64 off, v[24:25], off offset:476
	scratch_store_b64 off, v[34:35], off offset:492
	;; [unrolled: 1-line block ×4, first 2 shown]
	v_add_f64_e32 v[6:7], v[16:17], v[6:7]
	v_add_f64_e32 v[16:17], v[24:25], v[34:35]
	v_mul_f64_e32 v[24:25], s[24:25], v[36:37]
	v_add_f64_e32 v[34:35], v[52:53], v[56:57]
	s_delay_alu instid0(VALU_DEP_3) | instskip(SKIP_4) | instid1(VALU_DEP_2)
	v_fma_f64 v[18:19], v[16:17], s[20:21], v[18:19]
	scratch_store_b64 off, v[24:25], off offset:700 ; 8-byte Folded Spill
	v_add_f64_e32 v[18:19], v[18:19], v[2:3]
	v_add_f64_e32 v[2:3], v[28:29], v[38:39]
	v_add_f64_e64 v[38:39], v[50:51], -v[46:47]
	v_fma_f64 v[24:25], v[2:3], s[20:21], -v[24:25]
	s_delay_alu instid0(VALU_DEP_2) | instskip(SKIP_1) | instid1(VALU_DEP_3)
	v_mul_f64_e32 v[164:165], s[14:15], v[38:39]
	v_mul_f64_e32 v[220:221], s[48:49], v[38:39]
	v_add_f64_e32 v[6:7], v[24:25], v[6:7]
	v_mul_f64_e32 v[24:25], s[28:29], v[38:39]
	scratch_store_b64 off, v[24:25], off offset:668 ; 8-byte Folded Spill
	v_fma_f64 v[24:25], v[30:31], s[26:27], v[24:25]
	s_clause 0x1
	scratch_store_b64 off, v[42:43], off offset:508
	scratch_store_b64 off, v[48:49], off offset:524
	v_add_f64_e64 v[48:49], v[48:49], -v[42:43]
	s_clause 0x1
	scratch_store_b64 off, v[46:47], off offset:516
	scratch_store_b64 off, v[50:51], off offset:532
	v_add_f64_e64 v[42:43], v[54:55], -v[58:59]
	v_add_f64_e32 v[24:25], v[24:25], v[18:19]
	v_add_f64_e32 v[18:19], v[50:51], v[46:47]
	v_mul_f64_e32 v[28:29], s[28:29], v[48:49]
	v_add_f64_e32 v[46:47], v[54:55], v[58:59]
	v_mul_f64_e32 v[235:236], s[44:45], v[48:49]
	v_mul_f64_e32 v[239:240], s[14:15], v[48:49]
	;; [unrolled: 1-line block ×4, first 2 shown]
	scratch_store_b64 off, v[28:29], off offset:708 ; 8-byte Folded Spill
	v_fma_f64 v[28:29], v[18:19], s[26:27], -v[28:29]
	s_delay_alu instid0(VALU_DEP_1)
	v_add_f64_e32 v[28:29], v[28:29], v[6:7]
	v_mul_f64_e32 v[6:7], s[48:49], v[42:43]
	scratch_store_b64 off, v[6:7], off offset:676 ; 8-byte Folded Spill
	v_fma_f64 v[6:7], v[34:35], s[36:37], v[6:7]
	s_clause 0x3
	scratch_store_b64 off, v[52:53], off offset:540
	scratch_store_b64 off, v[56:57], off offset:556
	;; [unrolled: 1-line block ×4, first 2 shown]
	v_add_f64_e32 v[50:51], v[6:7], v[24:25]
	v_add_f64_e64 v[6:7], v[52:53], -v[56:57]
	s_delay_alu instid0(VALU_DEP_1) | instskip(SKIP_4) | instid1(VALU_DEP_1)
	v_mul_f64_e32 v[24:25], s[48:49], v[6:7]
	v_mul_f64_e32 v[230:231], s[38:39], v[6:7]
	;; [unrolled: 1-line block ×3, first 2 shown]
	scratch_store_b64 off, v[24:25], off offset:684 ; 8-byte Folded Spill
	v_fma_f64 v[24:25], v[46:47], s[36:37], -v[24:25]
	v_add_f64_e32 v[52:53], v[24:25], v[28:29]
	v_add_f64_e64 v[28:29], v[70:71], -v[68:69]
	v_add_f64_e32 v[24:25], v[66:67], v[64:65]
	s_delay_alu instid0(VALU_DEP_2)
	v_mul_f64_e32 v[54:55], s[40:41], v[28:29]
	v_mul_f64_e32 v[214:215], s[48:49], v[28:29]
	;; [unrolled: 1-line block ×3, first 2 shown]
	scratch_store_b64 off, v[54:55], off offset:660 ; 8-byte Folded Spill
	v_fma_f64 v[54:55], v[24:25], s[30:31], v[54:55]
	s_clause 0x3
	scratch_store_b64 off, v[64:65], off offset:572
	scratch_store_b64 off, v[66:67], off offset:580
	;; [unrolled: 1-line block ×4, first 2 shown]
	v_mul_f64_e32 v[64:65], s[42:43], v[6:7]
	v_add_f64_e32 v[56:57], v[54:55], v[50:51]
	v_add_f64_e32 v[50:51], v[70:71], v[68:69]
	v_mul_f64_e32 v[54:55], s[40:41], v[253:254]
	v_mul_f64_e32 v[68:69], s[44:45], v[38:39]
	;; [unrolled: 1-line block ×3, first 2 shown]
	scratch_store_b64 off, v[54:55], off offset:692 ; 8-byte Folded Spill
	v_fma_f64 v[54:55], v[50:51], s[30:31], -v[54:55]
	s_delay_alu instid0(VALU_DEP_1)
	v_add_f64_e32 v[58:59], v[54:55], v[52:53]
	v_fma_f64 v[52:53], v[186:187], s[16:17], v[84:85]
	v_mul_f64_e32 v[54:55], s[38:39], v[22:23]
	scratch_store_b128 off, v[56:59], off offset:8 ; 16-byte Folded Spill
	v_add_f64_e32 v[52:53], v[180:181], v[52:53]
	scratch_store_b64 off, v[54:55], off offset:716 ; 8-byte Folded Spill
	v_fma_f64 v[54:55], v[251:252], s[22:23], v[54:55]
	v_mul_f64_e32 v[56:57], s[38:39], v[44:45]
	s_delay_alu instid0(VALU_DEP_2) | instskip(SKIP_4) | instid1(VALU_DEP_1)
	v_add_f64_e32 v[52:53], v[54:55], v[52:53]
	v_fma_f64 v[54:55], v[80:81], s[16:17], -v[86:87]
	scratch_store_b64 off, v[56:57], off offset:740 ; 8-byte Folded Spill
	v_fma_f64 v[56:57], v[4:5], s[22:23], -v[56:57]
	v_add_f64_e32 v[54:55], v[182:183], v[54:55]
	v_add_f64_e32 v[54:55], v[56:57], v[54:55]
	v_mul_f64_e32 v[56:57], s[28:29], v[26:27]
	scratch_store_b64 off, v[56:57], off offset:724 ; 8-byte Folded Spill
	v_fma_f64 v[56:57], v[0:1], s[26:27], v[56:57]
	s_delay_alu instid0(VALU_DEP_1) | instskip(SKIP_3) | instid1(VALU_DEP_1)
	v_add_f64_e32 v[52:53], v[56:57], v[52:53]
	v_mul_f64_e32 v[56:57], s[28:29], v[40:41]
	scratch_store_b64 off, v[56:57], off offset:764 ; 8-byte Folded Spill
	v_fma_f64 v[56:57], v[12:13], s[26:27], -v[56:57]
	v_add_f64_e32 v[54:55], v[56:57], v[54:55]
	v_mul_f64_e32 v[56:57], s[40:41], v[14:15]
	scratch_store_b64 off, v[56:57], off offset:732 ; 8-byte Folded Spill
	v_fma_f64 v[56:57], v[8:9], s[30:31], v[56:57]
	s_delay_alu instid0(VALU_DEP_1) | instskip(SKIP_1) | instid1(VALU_DEP_1)
	v_add_f64_e32 v[52:53], v[56:57], v[52:53]
	v_fma_f64 v[56:57], v[20:21], s[30:31], -v[188:189]
	v_add_f64_e32 v[56:57], v[56:57], v[54:55]
	v_mul_f64_e32 v[54:55], s[50:51], v[32:33]
	s_delay_alu instid0(VALU_DEP_1)
	v_fma_f64 v[58:59], v[16:17], s[36:37], v[54:55]
	scratch_store_b64 off, v[54:55], off offset:788 ; 8-byte Folded Spill
	v_mul_f64_e32 v[54:55], s[42:43], v[42:43]
	v_add_f64_e32 v[52:53], v[58:59], v[52:53]
	v_fma_f64 v[58:59], v[2:3], s[36:37], -v[228:229]
	scratch_store_b64 off, v[54:55], off offset:772 ; 8-byte Folded Spill
	v_add_f64_e32 v[56:57], v[58:59], v[56:57]
	v_fma_f64 v[58:59], v[30:31], s[20:21], v[68:69]
	s_delay_alu instid0(VALU_DEP_1) | instskip(SKIP_1) | instid1(VALU_DEP_1)
	v_add_f64_e32 v[52:53], v[58:59], v[52:53]
	v_fma_f64 v[58:59], v[18:19], s[20:21], -v[235:236]
	v_add_f64_e32 v[56:57], v[58:59], v[56:57]
	v_fma_f64 v[58:59], v[34:35], s[10:11], v[54:55]
	v_mul_f64_e32 v[54:55], s[52:53], v[28:29]
	s_delay_alu instid0(VALU_DEP_2) | instskip(SKIP_1) | instid1(VALU_DEP_1)
	v_add_f64_e32 v[52:53], v[58:59], v[52:53]
	v_fma_f64 v[58:59], v[46:47], s[10:11], -v[64:65]
	v_add_f64_e32 v[56:57], v[58:59], v[56:57]
	s_delay_alu instid0(VALU_DEP_4) | instskip(NEXT) | instid1(VALU_DEP_1)
	v_fma_f64 v[58:59], v[24:25], s[12:13], v[54:55]
	v_add_f64_e32 v[168:169], v[58:59], v[52:53]
	v_fma_f64 v[52:53], v[50:51], s[12:13], -v[218:219]
	v_mul_f64_e32 v[58:59], s[28:29], v[44:45]
	scratch_store_b64 off, v[54:55], off offset:780 ; 8-byte Folded Spill
	v_mul_f64_e32 v[54:55], s[28:29], v[22:23]
	v_add_f64_e32 v[170:171], v[52:53], v[56:57]
	scratch_store_b64 off, v[58:59], off offset:756 ; 8-byte Folded Spill
	v_fma_f64 v[52:53], v[186:187], s[10:11], v[88:89]
	v_fma_f64 v[56:57], v[251:252], s[26:27], v[54:55]
	v_fma_f64 v[58:59], v[4:5], s[26:27], -v[58:59]
	s_delay_alu instid0(VALU_DEP_3) | instskip(NEXT) | instid1(VALU_DEP_1)
	v_add_f64_e32 v[52:53], v[180:181], v[52:53]
	v_add_f64_e32 v[52:53], v[56:57], v[52:53]
	v_fma_f64 v[56:57], v[80:81], s[10:11], -v[90:91]
	s_delay_alu instid0(VALU_DEP_1) | instskip(NEXT) | instid1(VALU_DEP_1)
	v_add_f64_e32 v[56:57], v[182:183], v[56:57]
	v_add_f64_e32 v[56:57], v[58:59], v[56:57]
	v_mul_f64_e32 v[58:59], s[54:55], v[26:27]
	scratch_store_b64 off, v[58:59], off offset:748 ; 8-byte Folded Spill
	v_fma_f64 v[58:59], v[0:1], s[30:31], v[58:59]
	s_delay_alu instid0(VALU_DEP_1) | instskip(SKIP_1) | instid1(VALU_DEP_1)
	v_add_f64_e32 v[52:53], v[58:59], v[52:53]
	v_fma_f64 v[58:59], v[12:13], s[30:31], -v[216:217]
	v_add_f64_e32 v[56:57], v[58:59], v[56:57]
	v_mul_f64_e32 v[58:59], s[44:45], v[14:15]
	s_delay_alu instid0(VALU_DEP_1) | instskip(NEXT) | instid1(VALU_DEP_1)
	v_fma_f64 v[66:67], v[8:9], s[20:21], v[58:59]
	v_add_f64_e32 v[52:53], v[66:67], v[52:53]
	v_fma_f64 v[66:67], v[20:21], s[20:21], -v[226:227]
	s_delay_alu instid0(VALU_DEP_1) | instskip(SKIP_1) | instid1(VALU_DEP_1)
	v_add_f64_e32 v[56:57], v[66:67], v[56:57]
	v_fma_f64 v[66:67], v[16:17], s[16:17], v[70:71]
	v_add_f64_e32 v[52:53], v[66:67], v[52:53]
	v_fma_f64 v[66:67], v[2:3], s[16:17], -v[72:73]
	s_delay_alu instid0(VALU_DEP_1) | instskip(SKIP_1) | instid1(VALU_DEP_1)
	v_add_f64_e32 v[56:57], v[66:67], v[56:57]
	;; [unrolled: 5-line block ×3, first 2 shown]
	v_mul_f64_e32 v[66:67], s[38:39], v[42:43]
	v_fma_f64 v[74:75], v[34:35], s[22:23], v[66:67]
	s_delay_alu instid0(VALU_DEP_1) | instskip(SKIP_1) | instid1(VALU_DEP_1)
	v_add_f64_e32 v[52:53], v[74:75], v[52:53]
	v_fma_f64 v[74:75], v[46:47], s[22:23], -v[230:231]
	v_add_f64_e32 v[56:57], v[74:75], v[56:57]
	v_fma_f64 v[74:75], v[24:25], s[36:37], v[214:215]
	s_delay_alu instid0(VALU_DEP_1) | instskip(SKIP_1) | instid1(VALU_DEP_1)
	v_add_f64_e32 v[172:173], v[74:75], v[52:53]
	v_fma_f64 v[52:53], v[50:51], s[36:37], -v[224:225]
	v_add_f64_e32 v[174:175], v[52:53], v[56:57]
	v_mul_f64_e32 v[52:53], s[38:39], v[76:77]
	s_delay_alu instid0(VALU_DEP_1) | instskip(NEXT) | instid1(VALU_DEP_1)
	v_fma_f64 v[56:57], v[186:187], s[22:23], v[52:53]
	v_add_f64_e32 v[74:75], v[180:181], v[56:57]
	v_mul_f64_e32 v[56:57], s[40:41], v[22:23]
	s_delay_alu instid0(VALU_DEP_1) | instskip(NEXT) | instid1(VALU_DEP_1)
	v_fma_f64 v[166:167], v[251:252], s[30:31], v[56:57]
	v_add_f64_e32 v[74:75], v[166:167], v[74:75]
	v_fma_f64 v[166:167], v[80:81], s[22:23], -v[202:203]
	s_delay_alu instid0(VALU_DEP_1) | instskip(NEXT) | instid1(VALU_DEP_1)
	v_add_f64_e32 v[166:167], v[182:183], v[166:167]
	v_add_f64_e32 v[166:167], v[176:177], v[166:167]
	v_mul_f64_e32 v[176:177], s[44:45], v[26:27]
	scratch_store_b64 off, v[176:177], off offset:796 ; 8-byte Folded Spill
	v_fma_f64 v[176:177], v[0:1], s[20:21], v[176:177]
	s_delay_alu instid0(VALU_DEP_1) | instskip(SKIP_1) | instid1(VALU_DEP_1)
	v_add_f64_e32 v[74:75], v[176:177], v[74:75]
	v_fma_f64 v[176:177], v[12:13], s[20:21], -v[222:223]
	v_add_f64_e32 v[176:177], v[176:177], v[166:167]
	v_fma_f64 v[166:167], v[8:9], s[12:13], v[210:211]
	s_delay_alu instid0(VALU_DEP_1) | instskip(SKIP_1) | instid1(VALU_DEP_1)
	v_add_f64_e32 v[74:75], v[166:167], v[74:75]
	v_mul_f64_e32 v[166:167], s[52:53], v[10:11]
	v_fma_f64 v[178:179], v[20:21], s[12:13], -v[166:167]
	s_delay_alu instid0(VALU_DEP_1) | instskip(SKIP_1) | instid1(VALU_DEP_1)
	v_add_f64_e32 v[176:177], v[178:179], v[176:177]
	v_fma_f64 v[178:179], v[16:17], s[10:11], v[190:191]
	v_add_f64_e32 v[178:179], v[178:179], v[74:75]
	v_mul_f64_e32 v[74:75], s[34:35], v[36:37]
	s_delay_alu instid0(VALU_DEP_1) | instskip(NEXT) | instid1(VALU_DEP_1)
	v_fma_f64 v[200:201], v[2:3], s[10:11], -v[74:75]
	v_add_f64_e32 v[176:177], v[200:201], v[176:177]
	v_fma_f64 v[200:201], v[30:31], s[36:37], v[220:221]
	s_delay_alu instid0(VALU_DEP_1) | instskip(SKIP_1) | instid1(VALU_DEP_1)
	v_add_f64_e32 v[178:179], v[200:201], v[178:179]
	v_fma_f64 v[200:201], v[18:19], s[36:37], -v[243:244]
	v_add_f64_e32 v[176:177], v[200:201], v[176:177]
	v_fma_f64 v[200:201], v[34:35], s[26:27], v[241:242]
	s_delay_alu instid0(VALU_DEP_1) | instskip(SKIP_1) | instid1(VALU_DEP_1)
	v_add_f64_e32 v[178:179], v[200:201], v[178:179]
	;; [unrolled: 5-line block ×3, first 2 shown]
	v_fma_f64 v[178:179], v[50:51], s[16:17], -v[237:238]
	v_add_f64_e32 v[178:179], v[178:179], v[200:201]
	s_and_saveexec_b32 s1, s0
	s_cbranch_execz .LBB0_9
; %bb.8:
	s_clause 0x3
	scratch_store_b64 off, v[140:141], off offset:828
	scratch_store_b64 off, v[198:199], off offset:836
	;; [unrolled: 1-line block ×4, first 2 shown]
	v_mul_f64_e32 v[62:63], s[28:29], v[76:77]
	s_clause 0x1
	scratch_store_b64 off, v[196:197], off offset:820
	scratch_store_b128 off, v[142:145], off offset:804
	v_dual_mov_b32 v145, v55 :: v_dual_mov_b32 v144, v54
	v_mul_f64_e32 v[196:197], s[30:31], v[80:81]
	v_mul_f64_e32 v[140:141], s[36:37], v[80:81]
	;; [unrolled: 1-line block ×3, first 2 shown]
	s_clause 0x3
	scratch_store_b64 off, v[192:193], off offset:860
	scratch_store_b64 off, v[194:195], off offset:868
	;; [unrolled: 1-line block ×4, first 2 shown]
	s_mov_b32 s59, 0x3fefdd0d
	s_mov_b32 s58, s38
	v_fma_f64 v[54:55], v[186:187], s[26:27], v[62:63]
	v_fma_f64 v[62:63], v[186:187], s[26:27], -v[62:63]
	v_fma_f64 v[200:201], v[82:83], s[54:55], v[196:197]
	v_fma_f64 v[196:197], v[82:83], s[40:41], v[196:197]
	;; [unrolled: 1-line block ×6, first 2 shown]
	v_add_f64_e32 v[54:55], v[180:181], v[54:55]
	scratch_store_b64 off, v[58:59], off offset:940 ; 8-byte Folded Spill
	v_mul_f64_e32 v[58:59], s[20:21], v[80:81]
	v_add_f64_e32 v[196:197], v[182:183], v[196:197]
	v_add_f64_e32 v[56:57], v[182:183], v[56:57]
	scratch_store_b64 off, v[54:55], off offset:948 ; 8-byte Folded Spill
	v_add_f64_e32 v[54:55], v[182:183], v[198:199]
	v_fma_f64 v[60:61], v[82:83], s[44:45], v[58:59]
	v_fma_f64 v[58:59], v[82:83], s[24:25], v[58:59]
	v_mul_f64_e32 v[82:83], s[22:23], v[80:81]
	scratch_store_b64 off, v[54:55], off offset:988 ; 8-byte Folded Spill
	v_add_f64_e32 v[54:55], v[180:181], v[62:63]
	v_add_f64_e32 v[82:83], v[202:203], v[82:83]
	v_mul_f64_e32 v[202:203], s[22:23], v[186:187]
	scratch_store_b64 off, v[54:55], off offset:980 ; 8-byte Folded Spill
	v_add_f64_e32 v[54:55], v[182:183], v[60:61]
	v_mul_f64_e32 v[60:61], s[36:37], v[12:13]
	v_add_f64_e64 v[52:53], v[202:203], -v[52:53]
	v_mul_f64_e32 v[202:203], s[10:11], v[80:81]
	scratch_store_b64 off, v[54:55], off offset:932 ; 8-byte Folded Spill
	v_fma_f64 v[62:63], v[40:41], s[50:51], v[60:61]
	v_add_f64_e32 v[90:91], v[90:91], v[202:203]
	v_mul_f64_e32 v[202:203], s[10:11], v[186:187]
	s_delay_alu instid0(VALU_DEP_1) | instskip(SKIP_2) | instid1(VALU_DEP_2)
	v_add_f64_e64 v[88:89], v[202:203], -v[88:89]
	v_mul_f64_e32 v[202:203], s[16:17], v[80:81]
	v_mul_f64_e32 v[80:81], s[12:13], v[80:81]
	v_add_f64_e32 v[86:87], v[86:87], v[202:203]
	v_mul_f64_e32 v[202:203], s[16:17], v[186:187]
	s_delay_alu instid0(VALU_DEP_1) | instskip(NEXT) | instid1(VALU_DEP_4)
	v_add_f64_e64 v[84:85], v[202:203], -v[84:85]
	v_add_f64_e32 v[202:203], v[78:79], v[80:81]
	v_mul_f64_e32 v[78:79], s[40:41], v[76:77]
	v_mul_f64_e32 v[80:81], s[48:49], v[76:77]
	;; [unrolled: 1-line block ×3, first 2 shown]
	s_delay_alu instid0(VALU_DEP_3) | instskip(SKIP_1) | instid1(VALU_DEP_4)
	v_fma_f64 v[192:193], v[186:187], s[30:31], v[78:79]
	v_fma_f64 v[78:79], v[186:187], s[30:31], -v[78:79]
	v_fma_f64 v[194:195], v[186:187], s[36:37], v[80:81]
	v_fma_f64 v[80:81], v[186:187], s[36:37], -v[80:81]
	;; [unrolled: 2-line block ×3, first 2 shown]
	v_mul_f64_e32 v[186:187], s[12:13], v[186:187]
	v_add_f64_e32 v[192:193], v[180:181], v[192:193]
	s_delay_alu instid0(VALU_DEP_4) | instskip(NEXT) | instid1(VALU_DEP_3)
	v_add_f64_e32 v[54:55], v[180:181], v[207:208]
	v_add_f64_e64 v[184:185], v[186:187], -v[184:185]
	v_add_f64_e32 v[186:187], v[182:183], v[249:250]
	v_add_f64_e32 v[249:250], v[180:181], v[52:53]
	;; [unrolled: 1-line block ×3, first 2 shown]
	scratch_store_b64 off, v[186:187], off offset:884 ; 8-byte Folded Spill
	v_add_f64_e32 v[186:187], v[180:181], v[247:248]
	scratch_store_b64 off, v[52:53], off offset:892 ; 8-byte Folded Spill
	v_add_f64_e32 v[52:53], v[180:181], v[184:185]
	v_add_f64_e32 v[247:248], v[182:183], v[82:83]
	;; [unrolled: 1-line block ×3, first 2 shown]
	v_mul_f64_e32 v[184:185], s[20:21], v[46:47]
	s_clause 0x1
	scratch_store_b64 off, v[56:57], off offset:956
	scratch_store_b64 off, v[54:55], off offset:924
	v_add_f64_e32 v[54:55], v[182:183], v[58:59]
	v_mul_f64_e32 v[56:57], s[52:53], v[22:23]
	scratch_store_b64 off, v[186:187], off offset:908 ; 8-byte Folded Spill
	v_add_f64_e32 v[186:187], v[182:183], v[200:201]
	v_add_f64_e32 v[200:201], v[180:181], v[78:79]
	;; [unrolled: 1-line block ×3, first 2 shown]
	scratch_store_b64 off, v[52:53], off offset:900 ; 8-byte Folded Spill
	v_mul_f64_e32 v[52:53], s[12:13], v[4:5]
	scratch_store_b64 off, v[54:55], off offset:1004 ; 8-byte Folded Spill
	v_add_f64_e32 v[54:55], v[180:181], v[76:77]
	v_fma_f64 v[58:59], v[251:252], s[12:13], v[56:57]
	v_add_f64_e32 v[76:77], v[182:183], v[86:87]
	v_fma_f64 v[56:57], v[251:252], s[12:13], -v[56:57]
	scratch_store_b64 off, v[78:79], off offset:1020 ; 8-byte Folded Spill
	v_add_f64_e32 v[78:79], v[180:181], v[194:195]
	scratch_store_b64 off, v[54:55], off offset:996 ; 8-byte Folded Spill
	v_fma_f64 v[54:55], v[44:45], s[14:15], v[52:53]
	v_add_f64_e32 v[58:59], v[58:59], v[192:193]
	v_mul_f64_e32 v[192:193], s[22:23], v[50:51]
	v_fma_f64 v[52:53], v[44:45], s[52:53], v[52:53]
	v_add_f64_e32 v[56:57], v[56:57], v[200:201]
	scratch_store_b64 off, v[78:79], off offset:1012 ; 8-byte Folded Spill
	v_add_f64_e32 v[78:79], v[182:183], v[140:141]
	v_add_f64_e32 v[54:55], v[54:55], v[186:187]
	v_mul_f64_e32 v[186:187], s[24:25], v[42:43]
	v_add_f64_e32 v[52:53], v[52:53], v[196:197]
	scratch_store_b64 off, v[78:79], off offset:972 ; 8-byte Folded Spill
	v_add_f64_e32 v[78:79], v[180:181], v[80:81]
	v_add_f64_e32 v[80:81], v[182:183], v[90:91]
	;; [unrolled: 1-line block ×3, first 2 shown]
	v_mul_f64_e32 v[62:63], s[48:49], v[26:27]
	scratch_store_b64 off, v[78:79], off offset:964 ; 8-byte Folded Spill
	v_add_f64_e32 v[78:79], v[180:181], v[84:85]
	v_fma_f64 v[84:85], v[0:1], s[36:37], v[62:63]
	s_delay_alu instid0(VALU_DEP_1) | instskip(SKIP_1) | instid1(VALU_DEP_1)
	v_add_f64_e32 v[58:59], v[84:85], v[58:59]
	v_mul_f64_e32 v[84:85], s[16:17], v[20:21]
	v_fma_f64 v[86:87], v[10:11], s[18:19], v[84:85]
	s_delay_alu instid0(VALU_DEP_1) | instskip(SKIP_1) | instid1(VALU_DEP_1)
	v_add_f64_e32 v[54:55], v[86:87], v[54:55]
	v_mul_f64_e32 v[86:87], s[46:47], v[14:15]
	;; [unrolled: 4-line block ×6, first 2 shown]
	v_fma_f64 v[180:181], v[30:31], s[10:11], v[142:143]
	s_delay_alu instid0(VALU_DEP_1) | instskip(SKIP_1) | instid1(VALU_DEP_1)
	v_add_f64_e32 v[58:59], v[180:181], v[58:59]
	v_fma_f64 v[180:181], v[6:7], s[44:45], v[184:185]
	v_add_f64_e32 v[54:55], v[180:181], v[54:55]
	v_fma_f64 v[180:181], v[34:35], s[20:21], v[186:187]
	s_delay_alu instid0(VALU_DEP_1) | instskip(SKIP_1) | instid1(VALU_DEP_1)
	v_add_f64_e32 v[58:59], v[180:181], v[58:59]
	v_fma_f64 v[180:181], v[253:254], s[38:39], v[192:193]
	v_add_f64_e32 v[182:183], v[180:181], v[54:55]
	v_mul_f64_e32 v[54:55], s[58:59], v[28:29]
	s_delay_alu instid0(VALU_DEP_1) | instskip(SKIP_1) | instid1(VALU_DEP_2)
	v_fma_f64 v[180:181], v[24:25], s[22:23], v[54:55]
	v_fma_f64 v[54:55], v[24:25], s[22:23], -v[54:55]
	v_add_f64_e32 v[180:181], v[180:181], v[58:59]
	v_fma_f64 v[58:59], v[40:41], s[48:49], v[60:61]
	v_mul_f64_e32 v[60:61], s[36:37], v[24:25]
	s_delay_alu instid0(VALU_DEP_2) | instskip(SKIP_1) | instid1(VALU_DEP_3)
	v_add_f64_e32 v[52:53], v[58:59], v[52:53]
	v_fma_f64 v[58:59], v[0:1], s[36:37], -v[62:63]
	v_add_f64_e64 v[60:61], v[60:61], -v[214:215]
	v_mul_f64_e32 v[214:215], s[26:27], v[46:47]
	s_delay_alu instid0(VALU_DEP_3) | instskip(SKIP_1) | instid1(VALU_DEP_3)
	v_add_f64_e32 v[56:57], v[58:59], v[56:57]
	v_fma_f64 v[58:59], v[10:11], s[46:47], v[84:85]
	v_add_f64_e32 v[214:215], v[245:246], v[214:215]
	v_mul_f64_e32 v[245:246], s[20:21], v[4:5]
	s_delay_alu instid0(VALU_DEP_3) | instskip(SKIP_1) | instid1(VALU_DEP_1)
	v_add_f64_e32 v[52:53], v[58:59], v[52:53]
	v_fma_f64 v[58:59], v[8:9], s[16:17], -v[86:87]
	v_add_f64_e32 v[56:57], v[58:59], v[56:57]
	v_fma_f64 v[58:59], v[36:37], s[28:29], v[88:89]
	s_delay_alu instid0(VALU_DEP_1) | instskip(SKIP_1) | instid1(VALU_DEP_1)
	v_add_f64_e32 v[52:53], v[58:59], v[52:53]
	v_fma_f64 v[58:59], v[16:17], s[26:27], -v[90:91]
	v_add_f64_e32 v[56:57], v[58:59], v[56:57]
	v_fma_f64 v[58:59], v[48:49], s[42:43], v[140:141]
	s_delay_alu instid0(VALU_DEP_1) | instskip(SKIP_1) | instid1(VALU_DEP_1)
	;; [unrolled: 5-line block ×3, first 2 shown]
	v_add_f64_e32 v[52:53], v[58:59], v[52:53]
	v_fma_f64 v[58:59], v[34:35], s[20:21], -v[186:187]
	v_add_f64_e32 v[56:57], v[58:59], v[56:57]
	v_fma_f64 v[58:59], v[253:254], s[58:59], v[192:193]
	s_delay_alu instid0(VALU_DEP_2) | instskip(SKIP_4) | instid1(VALU_DEP_2)
	v_add_f64_e32 v[184:185], v[54:55], v[56:57]
	scratch_load_b64 v[54:55], off, off offset:764 th:TH_LOAD_LU ; 8-byte Folded Reload
	v_add_f64_e32 v[186:187], v[58:59], v[52:53]
	v_mul_f64_e32 v[52:53], s[20:21], v[18:19]
	v_mul_f64_e32 v[58:59], s[12:13], v[18:19]
	v_add_f64_e32 v[84:85], v[235:236], v[52:53]
	v_mul_f64_e32 v[52:53], s[36:37], v[2:3]
	s_delay_alu instid0(VALU_DEP_3) | instskip(SKIP_2) | instid1(VALU_DEP_4)
	v_add_f64_e32 v[194:195], v[239:240], v[58:59]
	v_mul_f64_e32 v[58:59], s[16:17], v[2:3]
	v_mul_f64_e32 v[235:236], s[12:13], v[8:9]
	v_add_f64_e32 v[56:57], v[228:229], v[52:53]
	v_mul_f64_e32 v[52:53], s[30:31], v[20:21]
	s_delay_alu instid0(VALU_DEP_4)
	v_add_f64_e32 v[72:73], v[72:73], v[58:59]
	v_mul_f64_e32 v[58:59], s[20:21], v[20:21]
	v_mul_f64_e32 v[228:229], s[30:31], v[251:252]
	v_add_f64_e64 v[209:210], v[235:236], -v[210:211]
	v_mul_f64_e32 v[235:236], s[10:11], v[16:17]
	v_add_f64_e32 v[86:87], v[188:189], v[52:53]
	v_mul_f64_e32 v[52:53], s[26:27], v[12:13]
	v_add_f64_e32 v[196:197], v[226:227], v[58:59]
	v_mul_f64_e32 v[58:59], s[30:31], v[12:13]
	v_mul_f64_e32 v[226:227], s[10:11], v[2:3]
	v_add_f64_e64 v[190:191], v[235:236], -v[190:191]
	v_mul_f64_e32 v[235:236], s[36:37], v[30:31]
	s_delay_alu instid0(VALU_DEP_4) | instskip(SKIP_2) | instid1(VALU_DEP_4)
	v_add_f64_e32 v[198:199], v[216:217], v[58:59]
	v_mul_f64_e32 v[58:59], s[26:27], v[4:5]
	v_add_f64_e32 v[74:75], v[74:75], v[226:227]
	v_add_f64_e64 v[220:221], v[235:236], -v[220:221]
	v_mul_f64_e32 v[235:236], s[16:17], v[50:51]
	v_mul_f64_e32 v[226:227], s[12:13], v[20:21]
	s_delay_alu instid0(VALU_DEP_2) | instskip(SKIP_1) | instid1(VALU_DEP_3)
	v_add_f64_e32 v[235:236], v[237:238], v[235:236]
	v_mul_f64_e32 v[237:238], s[16:17], v[24:25]
	v_add_f64_e32 v[166:167], v[166:167], v[226:227]
	v_mul_f64_e32 v[226:227], s[20:21], v[12:13]
	s_delay_alu instid0(VALU_DEP_3) | instskip(SKIP_1) | instid1(VALU_DEP_3)
	v_add_f64_e64 v[233:234], v[237:238], -v[233:234]
	v_mul_f64_e32 v[237:238], s[10:11], v[4:5]
	v_add_f64_e32 v[222:223], v[222:223], v[226:227]
	v_mul_f64_e32 v[226:227], s[30:31], v[4:5]
	s_delay_alu instid0(VALU_DEP_3) | instskip(SKIP_1) | instid1(VALU_DEP_3)
	v_fma_f64 v[239:240], v[44:45], s[34:35], v[237:238]
	v_fma_f64 v[237:238], v[44:45], s[42:43], v[237:238]
	v_add_f64_e32 v[212:213], v[212:213], v[226:227]
	v_mul_f64_e32 v[226:227], s[26:27], v[34:35]
	s_delay_alu instid0(VALU_DEP_1)
	v_add_f64_e64 v[226:227], v[226:227], -v[241:242]
	v_mul_f64_e32 v[241:242], s[42:43], v[22:23]
	s_wait_loadcnt 0x0
	v_add_f64_e32 v[88:89], v[54:55], v[52:53]
	scratch_load_b64 v[54:55], off, off offset:740 th:TH_LOAD_LU ; 8-byte Folded Reload
	v_mul_f64_e32 v[52:53], s[22:23], v[4:5]
	s_wait_loadcnt 0x0
	s_delay_alu instid0(VALU_DEP_1) | instskip(SKIP_4) | instid1(VALU_DEP_3)
	v_add_f64_e32 v[90:91], v[54:55], v[52:53]
	scratch_load_b64 v[54:55], off, off offset:788 th:TH_LOAD_LU ; 8-byte Folded Reload
	v_mul_f64_e32 v[52:53], s[20:21], v[30:31]
	v_add_f64_e32 v[76:77], v[90:91], v[76:77]
	v_add_f64_e32 v[90:91], v[212:213], v[247:248]
	v_add_f64_e64 v[68:69], v[52:53], -v[68:69]
	v_mul_f64_e32 v[52:53], s[36:37], v[16:17]
	v_mul_f64_e32 v[211:212], s[50:51], v[22:23]
	v_fma_f64 v[247:248], v[44:45], s[44:45], v[245:246]
	v_mul_f64_e32 v[22:23], s[44:45], v[22:23]
	v_fma_f64 v[245:246], v[44:45], s[24:25], v[245:246]
	v_add_f64_e32 v[76:77], v[88:89], v[76:77]
	v_add_f64_e32 v[88:89], v[222:223], v[90:91]
	s_delay_alu instid0(VALU_DEP_2) | instskip(NEXT) | instid1(VALU_DEP_2)
	v_add_f64_e32 v[76:77], v[86:87], v[76:77]
	v_add_f64_e32 v[86:87], v[166:167], v[88:89]
	s_delay_alu instid0(VALU_DEP_2) | instskip(NEXT) | instid1(VALU_DEP_2)
	v_add_f64_e32 v[56:57], v[56:57], v[76:77]
	v_add_f64_e32 v[74:75], v[74:75], v[86:87]
	v_mul_f64_e32 v[86:87], s[40:41], v[32:33]
	s_delay_alu instid0(VALU_DEP_3)
	v_add_f64_e32 v[56:57], v[84:85], v[56:57]
	s_wait_loadcnt 0x0
	v_add_f64_e64 v[140:141], v[52:53], -v[54:55]
	scratch_load_b64 v[54:55], off, off offset:716 th:TH_LOAD_LU ; 8-byte Folded Reload
	v_mul_f64_e32 v[52:53], s[22:23], v[251:252]
	s_wait_loadcnt 0x0
	s_delay_alu instid0(VALU_DEP_1) | instskip(SKIP_4) | instid1(VALU_DEP_2)
	v_add_f64_e64 v[142:143], v[52:53], -v[54:55]
	scratch_load_b64 v[54:55], off, off offset:724 th:TH_LOAD_LU ; 8-byte Folded Reload
	v_mul_f64_e32 v[52:53], s[26:27], v[0:1]
	v_add_f64_e32 v[78:79], v[142:143], v[78:79]
	s_wait_loadcnt 0x0
	v_add_f64_e64 v[188:189], v[52:53], -v[54:55]
	scratch_load_b64 v[54:55], off, off offset:732 th:TH_LOAD_LU ; 8-byte Folded Reload
	v_mul_f64_e32 v[52:53], s[30:31], v[8:9]
	v_add_f64_e32 v[78:79], v[188:189], v[78:79]
	s_wait_loadcnt 0x0
	s_delay_alu instid0(VALU_DEP_2) | instskip(SKIP_3) | instid1(VALU_DEP_2)
	v_add_f64_e64 v[192:193], v[52:53], -v[54:55]
	scratch_load_b64 v[54:55], off, off offset:772 th:TH_LOAD_LU ; 8-byte Folded Reload
	v_mul_f64_e32 v[52:53], s[10:11], v[46:47]
	v_add_f64_e32 v[78:79], v[192:193], v[78:79]
	v_add_f64_e32 v[62:63], v[64:65], v[52:53]
	v_mul_f64_e32 v[52:53], s[10:11], v[34:35]
	s_delay_alu instid0(VALU_DEP_3) | instskip(SKIP_1) | instid1(VALU_DEP_2)
	v_add_f64_e32 v[76:77], v[140:141], v[78:79]
	v_mul_f64_e32 v[140:141], s[22:23], v[2:3]
	v_add_f64_e32 v[68:69], v[68:69], v[76:77]
	s_wait_loadcnt 0x0
	s_delay_alu instid0(VALU_DEP_4) | instskip(SKIP_2) | instid1(VALU_DEP_2)
	v_add_f64_e64 v[64:65], v[52:53], -v[54:55]
	v_mul_f64_e32 v[52:53], s[12:13], v[50:51]
	v_mul_f64_e32 v[54:55], s[12:13], v[24:25]
	v_add_f64_e32 v[52:53], v[218:219], v[52:53]
	scratch_store_b64 off, v[52:53], off offset:716 ; 8-byte Folded Spill
	scratch_load_b64 v[52:53], off, off offset:780 th:TH_LOAD_LU ; 8-byte Folded Reload
	s_wait_loadcnt 0x0
	v_add_f64_e64 v[52:53], v[54:55], -v[52:53]
	v_dual_mov_b32 v54, v146 :: v_dual_mov_b32 v55, v147
	scratch_store_b64 off, v[52:53], off offset:724 ; 8-byte Folded Spill
	scratch_load_b64 v[52:53], off, off offset:756 th:TH_LOAD_LU ; 8-byte Folded Reload
	s_wait_loadcnt 0x0
	v_add_f64_e32 v[200:201], v[52:53], v[58:59]
	scratch_load_b64 v[52:53], off, off offset:748 th:TH_LOAD_LU ; 8-byte Folded Reload
	v_mul_f64_e32 v[58:59], s[12:13], v[30:31]
	v_add_f64_e32 v[80:81], v[200:201], v[80:81]
	v_mul_f64_e32 v[200:201], s[36:37], v[4:5]
	s_delay_alu instid0(VALU_DEP_3) | instskip(SKIP_4) | instid1(VALU_DEP_4)
	v_add_f64_e64 v[164:165], v[58:59], -v[164:165]
	v_mul_f64_e32 v[58:59], s[16:17], v[16:17]
	v_mul_f64_e32 v[4:5], s[16:17], v[4:5]
	v_add_f64_e32 v[80:81], v[198:199], v[80:81]
	v_mul_f64_e32 v[198:199], s[46:47], v[26:27]
	v_add_f64_e64 v[70:71], v[58:59], -v[70:71]
	v_mul_f64_e32 v[58:59], s[26:27], v[251:252]
	s_delay_alu instid0(VALU_DEP_4) | instskip(SKIP_1) | instid1(VALU_DEP_3)
	v_add_f64_e32 v[80:81], v[196:197], v[80:81]
	v_mul_f64_e32 v[196:197], s[36:37], v[20:21]
	v_add_f64_e64 v[202:203], v[58:59], -v[144:145]
	v_mul_f64_e32 v[58:59], s[30:31], v[0:1]
	v_mul_f64_e32 v[144:145], s[22:23], v[12:13]
	v_add_f64_e32 v[72:73], v[72:73], v[80:81]
	v_mul_f64_e32 v[80:81], s[30:31], v[2:3]
	v_add_f64_e32 v[82:83], v[202:203], v[82:83]
	v_fma_f64 v[202:203], v[44:45], s[50:51], v[200:201]
	v_fma_f64 v[146:147], v[40:41], s[58:59], v[144:145]
	;; [unrolled: 1-line block ×3, first 2 shown]
	v_add_f64_e32 v[72:73], v[194:195], v[72:73]
	s_wait_loadcnt 0x0
	v_add_f64_e64 v[207:208], v[58:59], -v[52:53]
	scratch_load_b64 v[52:53], off, off offset:940 th:TH_LOAD_LU ; 8-byte Folded Reload
	v_mul_f64_e32 v[58:59], s[20:21], v[8:9]
	v_add_f64_e32 v[82:83], v[207:208], v[82:83]
	v_mul_f64_e32 v[207:208], s[12:13], v[12:13]
	s_delay_alu instid0(VALU_DEP_1)
	v_fma_f64 v[222:223], v[40:41], s[14:15], v[207:208]
	v_fma_f64 v[207:208], v[40:41], s[52:53], v[207:208]
	s_wait_loadcnt 0x0
	v_add_f64_e64 v[216:217], v[58:59], -v[52:53]
	scratch_load_b64 v[52:53], off, off offset:916 th:TH_LOAD_LU ; 8-byte Folded Reload
	v_mul_f64_e32 v[58:59], s[22:23], v[46:47]
	v_add_f64_e32 v[82:83], v[216:217], v[82:83]
	v_mul_f64_e32 v[216:217], s[12:13], v[2:3]
	s_delay_alu instid0(VALU_DEP_3)
	v_add_f64_e32 v[218:219], v[230:231], v[58:59]
	v_mul_f64_e32 v[230:231], s[20:21], v[0:1]
	v_mul_f64_e32 v[58:59], s[22:23], v[34:35]
	;; [unrolled: 1-line block ×3, first 2 shown]
	v_add_f64_e32 v[70:71], v[70:71], v[82:83]
	v_fma_f64 v[82:83], v[36:37], s[40:41], v[80:81]
	s_delay_alu instid0(VALU_DEP_4) | instskip(SKIP_1) | instid1(VALU_DEP_4)
	v_add_f64_e64 v[66:67], v[58:59], -v[66:67]
	v_mul_f64_e32 v[58:59], s[36:37], v[50:51]
	v_add_f64_e32 v[70:71], v[164:165], v[70:71]
	s_delay_alu instid0(VALU_DEP_2) | instskip(SKIP_1) | instid1(VALU_DEP_1)
	v_add_f64_e32 v[58:59], v[224:225], v[58:59]
	v_mul_f64_e32 v[224:225], s[36:37], v[18:19]
	v_add_f64_e32 v[224:225], v[243:244], v[224:225]
	v_fma_f64 v[243:244], v[251:252], s[10:11], v[241:242]
	v_fma_f64 v[241:242], v[251:252], s[10:11], -v[241:242]
	s_delay_alu instid0(VALU_DEP_3)
	v_add_f64_e32 v[74:75], v[224:225], v[74:75]
	s_wait_loadcnt 0x0
	v_add_f64_e64 v[228:229], v[228:229], -v[52:53]
	scratch_load_b64 v[52:53], off, off offset:796 th:TH_LOAD_LU ; 8-byte Folded Reload
	v_add_f64_e32 v[142:143], v[228:229], v[249:250]
	v_fma_f64 v[228:229], v[251:252], s[36:37], -v[211:212]
	v_fma_f64 v[249:250], v[251:252], s[20:21], -v[22:23]
	v_fma_f64 v[22:23], v[251:252], s[20:21], v[22:23]
	s_wait_loadcnt 0x0
	v_add_f64_e64 v[230:231], v[230:231], -v[52:53]
	scratch_load_b64 v[52:53], off, off offset:1020 th:TH_LOAD_LU ; 8-byte Folded Reload
	v_add_f64_e32 v[90:91], v[230:231], v[142:143]
	v_mul_f64_e32 v[142:143], s[16:17], v[12:13]
	v_mul_f64_e32 v[12:13], s[10:11], v[12:13]
	s_delay_alu instid0(VALU_DEP_3) | instskip(NEXT) | instid1(VALU_DEP_3)
	v_add_f64_e32 v[88:89], v[209:210], v[90:91]
	v_fma_f64 v[188:189], v[40:41], s[46:47], v[142:143]
	v_mul_f64_e32 v[90:91], s[10:11], v[20:21]
	v_fma_f64 v[40:41], v[40:41], s[18:19], v[142:143]
	s_delay_alu instid0(VALU_DEP_4) | instskip(SKIP_1) | instid1(VALU_DEP_4)
	v_add_f64_e32 v[78:79], v[190:191], v[88:89]
	v_fma_f64 v[88:89], v[16:17], s[30:31], -v[86:87]
	v_fma_f64 v[166:167], v[10:11], s[34:35], v[90:91]
	s_delay_alu instid0(VALU_DEP_3)
	v_add_f64_e32 v[76:77], v[220:221], v[78:79]
	s_wait_loadcnt 0x0
	v_add_f64_e32 v[239:240], v[239:240], v[52:53]
	scratch_load_b64 v[52:53], off, off offset:1012 th:TH_LOAD_LU ; 8-byte Folded Reload
	v_add_f64_e32 v[146:147], v[146:147], v[239:240]
	v_mul_f64_e32 v[239:240], s[38:39], v[26:27]
	v_mul_f64_e32 v[26:27], s[14:15], v[26:27]
	s_delay_alu instid0(VALU_DEP_2)
	v_fma_f64 v[230:231], v[0:1], s[22:23], -v[239:240]
	s_wait_loadcnt 0x0
	v_add_f64_e32 v[243:244], v[243:244], v[52:53]
	scratch_load_b64 v[52:53], off, off offset:1004 th:TH_LOAD_LU ; 8-byte Folded Reload
	s_wait_loadcnt 0x0
	v_add_f64_e32 v[202:203], v[202:203], v[52:53]
	scratch_load_b64 v[52:53], off, off offset:996 th:TH_LOAD_LU ; 8-byte Folded Reload
	v_add_f64_e32 v[188:189], v[188:189], v[202:203]
	v_fma_f64 v[202:203], v[0:1], s[16:17], -v[198:199]
	s_delay_alu instid0(VALU_DEP_2) | instskip(SKIP_1) | instid1(VALU_DEP_2)
	v_add_f64_e32 v[166:167], v[166:167], v[188:189]
	v_mul_f64_e32 v[188:189], s[34:35], v[14:15]
	v_add_f64_e32 v[82:83], v[82:83], v[166:167]
	s_delay_alu instid0(VALU_DEP_2)
	v_fma_f64 v[192:193], v[8:9], s[10:11], -v[188:189]
	v_fma_f64 v[166:167], v[36:37], s[58:59], v[140:141]
	s_wait_loadcnt 0x0
	v_add_f64_e32 v[228:229], v[228:229], v[52:53]
	scratch_load_b64 v[52:53], off, off offset:988 th:TH_LOAD_LU ; 8-byte Folded Reload
	v_add_f64_e32 v[202:203], v[202:203], v[228:229]
	v_fma_f64 v[228:229], v[0:1], s[12:13], -v[26:27]
	v_fma_f64 v[26:27], v[0:1], s[12:13], v[26:27]
	s_delay_alu instid0(VALU_DEP_3) | instskip(SKIP_1) | instid1(VALU_DEP_2)
	v_add_f64_e32 v[192:193], v[192:193], v[202:203]
	v_fma_f64 v[202:203], v[10:11], s[48:49], v[196:197]
	v_add_f64_e32 v[88:89], v[88:89], v[192:193]
	v_fma_f64 v[192:193], v[36:37], s[14:15], v[216:217]
	s_wait_loadcnt 0x0
	v_add_f64_e32 v[247:248], v[247:248], v[52:53]
	scratch_load_b64 v[52:53], off, off offset:980 th:TH_LOAD_LU ; 8-byte Folded Reload
	v_add_f64_e32 v[222:223], v[222:223], v[247:248]
	s_delay_alu instid0(VALU_DEP_1) | instskip(SKIP_1) | instid1(VALU_DEP_2)
	v_add_f64_e32 v[202:203], v[202:203], v[222:223]
	v_fma_f64 v[222:223], v[36:37], s[52:53], v[216:217]
	v_add_f64_e32 v[166:167], v[166:167], v[202:203]
	s_wait_loadcnt 0x0
	v_add_f64_e32 v[249:250], v[249:250], v[52:53]
	scratch_load_b64 v[52:53], off, off offset:972 th:TH_LOAD_LU ; 8-byte Folded Reload
	v_add_f64_e32 v[228:229], v[228:229], v[249:250]
	s_wait_loadcnt 0x0
	v_add_f64_e32 v[237:238], v[237:238], v[52:53]
	scratch_load_b64 v[52:53], off, off offset:964 th:TH_LOAD_LU ; 8-byte Folded Reload
	;; [unrolled: 4-line block ×4, first 2 shown]
	v_add_f64_e32 v[207:208], v[207:208], v[245:246]
	s_wait_loadcnt 0x0
	v_add_f64_e32 v[22:23], v[22:23], v[52:53]
	v_fma_f64 v[52:53], v[0:1], s[22:23], v[239:240]
	s_delay_alu instid0(VALU_DEP_2) | instskip(SKIP_1) | instid1(VALU_DEP_3)
	v_add_f64_e32 v[22:23], v[26:27], v[22:23]
	v_mul_f64_e32 v[26:27], s[26:27], v[20:21]
	v_add_f64_e32 v[52:53], v[52:53], v[243:244]
	v_mul_f64_e32 v[20:21], s[22:23], v[20:21]
	s_delay_alu instid0(VALU_DEP_3) | instskip(SKIP_1) | instid1(VALU_DEP_2)
	v_fma_f64 v[237:238], v[10:11], s[28:29], v[26:27]
	v_fma_f64 v[26:27], v[10:11], s[56:57], v[26:27]
	v_add_f64_e32 v[146:147], v[237:238], v[146:147]
	v_mul_f64_e32 v[237:238], s[56:57], v[14:15]
	v_mul_f64_e32 v[14:15], s[48:49], v[14:15]
	s_delay_alu instid0(VALU_DEP_4) | instskip(NEXT) | instid1(VALU_DEP_4)
	v_add_f64_e32 v[26:27], v[26:27], v[144:145]
	v_add_f64_e32 v[146:147], v[222:223], v[146:147]
	v_mul_f64_e32 v[222:223], s[14:15], v[32:33]
	s_delay_alu instid0(VALU_DEP_4)
	v_fma_f64 v[209:210], v[8:9], s[36:37], -v[14:15]
	v_fma_f64 v[14:15], v[8:9], s[36:37], v[14:15]
	v_mul_f64_e32 v[32:33], s[58:59], v[32:33]
	v_fma_f64 v[144:145], v[8:9], s[26:27], -v[237:238]
	v_add_f64_e32 v[26:27], v[192:193], v[26:27]
	v_fma_f64 v[239:240], v[8:9], s[26:27], v[237:238]
	v_fma_f64 v[192:193], v[16:17], s[12:13], -v[222:223]
	v_add_f64_e32 v[209:210], v[209:210], v[228:229]
	v_add_f64_e32 v[14:15], v[14:15], v[22:23]
	v_fma_f64 v[22:23], v[36:37], s[38:39], v[140:141]
	v_fma_f64 v[36:37], v[36:37], s[54:55], v[80:81]
	scratch_load_b64 v[80:81], off, off offset:932 th:TH_LOAD_LU ; 8-byte Folded Reload
	v_fma_f64 v[190:191], v[16:17], s[22:23], -v[32:33]
	v_fma_f64 v[32:33], v[16:17], s[22:23], v[32:33]
	v_add_f64_e32 v[144:145], v[144:145], v[230:231]
	v_fma_f64 v[228:229], v[16:17], s[12:13], v[222:223]
	v_mul_f64_e32 v[222:223], s[22:23], v[18:19]
	v_add_f64_e32 v[52:53], v[239:240], v[52:53]
	v_add_f64_e32 v[190:191], v[190:191], v[209:210]
	;; [unrolled: 1-line block ×3, first 2 shown]
	v_fma_f64 v[32:33], v[44:45], s[48:49], v[200:201]
	v_add_f64_e32 v[144:145], v[192:193], v[144:145]
	v_fma_f64 v[192:193], v[10:11], s[50:51], v[196:197]
	v_fma_f64 v[10:11], v[10:11], s[42:43], v[90:91]
	scratch_load_b64 v[90:91], off, off offset:924 th:TH_LOAD_LU ; 8-byte Folded Reload
	v_mul_f64_e32 v[44:45], s[16:17], v[46:47]
	v_mul_f64_e32 v[200:201], s[12:13], v[46:47]
	;; [unrolled: 1-line block ×3, first 2 shown]
	v_add_f64_e32 v[52:53], v[228:229], v[52:53]
	v_fma_f64 v[228:229], v[48:49], s[58:59], v[222:223]
	v_add_f64_e32 v[192:193], v[192:193], v[207:208]
	v_fma_f64 v[140:141], v[6:7], s[18:19], v[44:45]
	v_fma_f64 v[44:45], v[6:7], s[46:47], v[44:45]
	;; [unrolled: 1-line block ×5, first 2 shown]
	v_add_f64_e32 v[78:79], v[228:229], v[82:83]
	v_add_f64_e32 v[22:23], v[22:23], v[192:193]
	v_mul_f64_e32 v[192:193], s[30:31], v[46:47]
	v_add_f64_e32 v[84:85], v[216:217], v[166:167]
	s_delay_alu instid0(VALU_DEP_3) | instskip(NEXT) | instid1(VALU_DEP_3)
	v_add_f64_e32 v[22:23], v[209:210], v[22:23]
	v_fma_f64 v[196:197], v[6:7], s[40:41], v[192:193]
	v_fma_f64 v[192:193], v[6:7], s[54:55], v[192:193]
	;; [unrolled: 1-line block ×3, first 2 shown]
	v_mul_f64_e32 v[200:201], s[30:31], v[18:19]
	v_mul_f64_e32 v[18:19], s[26:27], v[18:19]
	s_delay_alu instid0(VALU_DEP_2) | instskip(SKIP_2) | instid1(VALU_DEP_3)
	v_fma_f64 v[207:208], v[48:49], s[54:55], v[200:201]
	v_fma_f64 v[200:201], v[48:49], s[40:41], v[200:201]
	;; [unrolled: 1-line block ×3, first 2 shown]
	v_add_f64_e32 v[146:147], v[207:208], v[146:147]
	s_delay_alu instid0(VALU_DEP_3) | instskip(NEXT) | instid1(VALU_DEP_1)
	v_add_f64_e32 v[26:27], v[200:201], v[26:27]
	v_add_f64_e32 v[26:27], v[44:45], v[26:27]
	s_wait_loadcnt 0x1
	v_add_f64_e32 v[32:33], v[32:33], v[80:81]
	v_fma_f64 v[80:81], v[251:252], s[36:37], v[211:212]
	s_delay_alu instid0(VALU_DEP_2) | instskip(SKIP_2) | instid1(VALU_DEP_3)
	v_add_f64_e32 v[32:33], v[40:41], v[32:33]
	v_fma_f64 v[40:41], v[0:1], s[16:17], v[198:199]
	v_mul_f64_e32 v[0:1], s[10:11], v[0:1]
	v_add_f64_e32 v[10:11], v[10:11], v[32:33]
	v_fma_f64 v[32:33], v[8:9], s[10:11], v[188:189]
	scratch_load_b64 v[188:189], off, off offset:708 th:TH_LOAD_LU ; 8-byte Folded Reload
	v_mul_f64_e32 v[8:9], s[22:23], v[8:9]
	s_wait_loadcnt 0x1
	v_add_f64_e32 v[80:81], v[80:81], v[90:91]
	v_mul_f64_e32 v[90:91], s[26:27], v[50:51]
	v_add_f64_e32 v[10:11], v[36:37], v[10:11]
	v_fma_f64 v[36:37], v[16:17], s[30:31], v[86:87]
	v_mul_f64_e32 v[16:17], s[20:21], v[16:17]
	v_add_f64_e32 v[40:41], v[40:41], v[80:81]
	v_mul_f64_e32 v[80:81], s[10:11], v[50:51]
	v_fma_f64 v[142:143], v[253:254], s[28:29], v[90:91]
	v_fma_f64 v[90:91], v[253:254], s[56:57], v[90:91]
	v_add_f64_e32 v[10:11], v[48:49], v[10:11]
	v_add_f64_e32 v[32:33], v[32:33], v[40:41]
	v_fma_f64 v[86:87], v[253:254], s[42:43], v[80:81]
	v_fma_f64 v[80:81], v[253:254], s[34:35], v[80:81]
	s_delay_alu instid0(VALU_DEP_3) | instskip(SKIP_2) | instid1(VALU_DEP_2)
	v_add_f64_e32 v[32:33], v[36:37], v[32:33]
	v_mul_f64_e32 v[36:37], s[20:21], v[50:51]
	v_mul_f64_e32 v[50:51], s[30:31], v[50:51]
	v_fma_f64 v[40:41], v[253:254], s[44:45], v[36:37]
	v_fma_f64 v[36:37], v[253:254], s[24:25], v[36:37]
	s_delay_alu instid0(VALU_DEP_1)
	v_add_f64_e32 v[26:27], v[36:37], v[26:27]
	s_wait_loadcnt 0x0
	v_add_f64_e32 v[18:19], v[188:189], v[18:19]
	s_clause 0x1
	scratch_load_b64 v[188:189], off, off offset:436 th:TH_LOAD_LU
	scratch_load_b64 v[198:199], off, off offset:884 th:TH_LOAD_LU
	s_wait_loadcnt 0x0
	v_add_f64_e32 v[188:189], v[198:199], v[188:189]
	s_clause 0x4
	scratch_load_b64 v[198:199], off, off offset:876 th:TH_LOAD_LU
	scratch_load_b64 v[211:212], off, off offset:908 th:TH_LOAD_LU
	scratch_load_b64 v[222:223], off, off offset:604 th:TH_LOAD_LU
	scratch_load_b64 v[230:231], off, off offset:668 th:TH_LOAD_LU
	scratch_load_b64 v[241:242], off, off offset:676 th:TH_LOAD_LU
	s_wait_loadcnt 0x3
	v_add_f64_e32 v[198:199], v[211:212], v[198:199]
	scratch_load_b64 v[211:212], off, off offset:700 th:TH_LOAD_LU ; 8-byte Folded Reload
	s_wait_loadcnt 0x0
	v_add_f64_e32 v[2:3], v[211:212], v[2:3]
	scratch_load_b64 v[211:212], off, off offset:444 th:TH_LOAD_LU ; 8-byte Folded Reload
	s_wait_loadcnt 0x0
	v_add_f64_e32 v[188:189], v[188:189], v[211:212]
	scratch_load_b64 v[211:212], off, off offset:820 th:TH_LOAD_LU ; 8-byte Folded Reload
	s_wait_loadcnt 0x0
	v_add_f64_e32 v[198:199], v[198:199], v[211:212]
	scratch_load_b64 v[211:212], off, off offset:652 th:TH_LOAD_LU ; 8-byte Folded Reload
	s_wait_loadcnt 0x0
	v_add_f64_e32 v[20:21], v[211:212], v[20:21]
	scratch_load_b64 v[211:212], off, off offset:452 th:TH_LOAD_LU ; 8-byte Folded Reload
	s_wait_loadcnt 0x0
	v_add_f64_e32 v[188:189], v[188:189], v[211:212]
	scratch_load_b64 v[211:212], off, off offset:868 th:TH_LOAD_LU ; 8-byte Folded Reload
	s_wait_loadcnt 0x0
	v_add_f64_e32 v[198:199], v[198:199], v[211:212]
	scratch_load_b64 v[211:212], off, off offset:636 th:TH_LOAD_LU ; 8-byte Folded Reload
	s_wait_loadcnt 0x0
	v_add_f64_e32 v[12:13], v[211:212], v[12:13]
	scratch_load_b64 v[211:212], off, off offset:484 th:TH_LOAD_LU ; 8-byte Folded Reload
	s_wait_loadcnt 0x0
	v_add_f64_e32 v[188:189], v[188:189], v[211:212]
	scratch_load_b64 v[211:212], off, off offset:476 th:TH_LOAD_LU ; 8-byte Folded Reload
	s_wait_loadcnt 0x0
	v_add_f64_e32 v[198:199], v[198:199], v[211:212]
	scratch_load_b64 v[211:212], off, off offset:620 th:TH_LOAD_LU ; 8-byte Folded Reload
	s_wait_loadcnt 0x0
	v_add_f64_e32 v[4:5], v[211:212], v[4:5]
	scratch_load_b64 v[211:212], off, off offset:532 th:TH_LOAD_LU ; 8-byte Folded Reload
	s_wait_loadcnt 0x0
	v_add_f64_e32 v[188:189], v[188:189], v[211:212]
	scratch_load_b64 v[211:212], off, off offset:524 th:TH_LOAD_LU ; 8-byte Folded Reload
	s_wait_loadcnt 0x0
	v_add_f64_e32 v[198:199], v[198:199], v[211:212]
	v_mul_f64_e32 v[211:212], s[16:17], v[251:252]
	s_delay_alu instid0(VALU_DEP_1)
	v_add_f64_e64 v[211:212], v[211:212], -v[222:223]
	scratch_load_b64 v[222:223], off, off offset:548 th:TH_LOAD_LU ; 8-byte Folded Reload
	s_wait_loadcnt 0x0
	v_add_f64_e32 v[188:189], v[188:189], v[222:223]
	scratch_load_b64 v[222:223], off, off offset:540 th:TH_LOAD_LU ; 8-byte Folded Reload
	s_wait_loadcnt 0x0
	v_add_f64_e32 v[198:199], v[198:199], v[222:223]
	scratch_load_b64 v[222:223], off, off offset:612 th:TH_LOAD_LU ; 8-byte Folded Reload
	s_wait_loadcnt 0x0
	v_add_f64_e64 v[0:1], v[0:1], -v[222:223]
	scratch_load_b64 v[222:223], off, off offset:892 th:TH_LOAD_LU ; 8-byte Folded Reload
	s_wait_loadcnt 0x0
	v_add_f64_e32 v[4:5], v[4:5], v[222:223]
	scratch_load_b64 v[222:223], off, off offset:900 th:TH_LOAD_LU ; 8-byte Folded Reload
	v_add_f64_e32 v[4:5], v[12:13], v[4:5]
	scratch_load_b64 v[12:13], off, off offset:588 th:TH_LOAD_LU ; 8-byte Folded Reload
	v_add_f64_e32 v[4:5], v[20:21], v[4:5]
	v_mul_f64_e32 v[20:21], s[40:41], v[38:39]
	s_delay_alu instid0(VALU_DEP_2)
	v_add_f64_e32 v[2:3], v[2:3], v[4:5]
	scratch_load_b64 v[4:5], off, off offset:516 th:TH_LOAD_LU ; 8-byte Folded Reload
	v_add_f64_e32 v[2:3], v[18:19], v[2:3]
	scratch_load_b64 v[18:19], off, off offset:860 th:TH_LOAD_LU ; 8-byte Folded Reload
	s_wait_loadcnt 0x3
	v_add_f64_e32 v[211:212], v[211:212], v[222:223]
	scratch_load_b64 v[222:223], off, off offset:596 th:TH_LOAD_LU ; 8-byte Folded Reload
	v_add_f64_e32 v[0:1], v[0:1], v[211:212]
	s_wait_loadcnt 0x0
	v_add_f64_e32 v[188:189], v[188:189], v[222:223]
	scratch_load_b64 v[222:223], off, off offset:580 th:TH_LOAD_LU ; 8-byte Folded Reload
	s_wait_loadcnt 0x0
	v_add_f64_e32 v[198:199], v[198:199], v[222:223]
	scratch_load_b64 v[222:223], off, off offset:628 th:TH_LOAD_LU ; 8-byte Folded Reload
	s_wait_loadcnt 0x0
	v_add_f64_e64 v[8:9], v[8:9], -v[222:223]
	s_delay_alu instid0(VALU_DEP_1)
	v_add_f64_e32 v[0:1], v[8:9], v[0:1]
	scratch_load_b64 v[8:9], off, off offset:564 th:TH_LOAD_LU ; 8-byte Folded Reload
	v_add_f64_e32 v[12:13], v[188:189], v[12:13]
	scratch_load_b64 v[188:189], off, off offset:572 th:TH_LOAD_LU ; 8-byte Folded Reload
	s_wait_loadcnt 0x1
	v_add_f64_e32 v[8:9], v[12:13], v[8:9]
	scratch_load_b64 v[12:13], off, off offset:556 th:TH_LOAD_LU ; 8-byte Folded Reload
	s_wait_loadcnt 0x1
	v_add_f64_e32 v[188:189], v[198:199], v[188:189]
	scratch_load_b64 v[198:199], off, off offset:644 th:TH_LOAD_LU ; 8-byte Folded Reload
	v_add_f64_e32 v[4:5], v[8:9], v[4:5]
	scratch_load_b64 v[8:9], off, off offset:508 th:TH_LOAD_LU ; 8-byte Folded Reload
	s_wait_loadcnt 0x2
	v_add_f64_e32 v[12:13], v[188:189], v[12:13]
	v_mul_f64_e32 v[188:189], s[18:19], v[38:39]
	s_wait_loadcnt 0x1
	v_add_f64_e64 v[16:17], v[16:17], -v[198:199]
	v_mul_f64_e32 v[38:39], s[58:59], v[38:39]
	v_fma_f64 v[198:199], v[30:31], s[30:31], v[20:21]
	v_fma_f64 v[20:21], v[30:31], s[30:31], -v[20:21]
	s_wait_loadcnt 0x0
	v_add_f64_e32 v[8:9], v[12:13], v[8:9]
	v_mul_f64_e32 v[12:13], s[36:37], v[46:47]
	v_add_f64_e32 v[0:1], v[16:17], v[0:1]
	scratch_load_b64 v[16:17], off, off offset:684 th:TH_LOAD_LU ; 8-byte Folded Reload
	v_fma_f64 v[211:212], v[30:31], s[16:17], -v[188:189]
	v_fma_f64 v[188:189], v[30:31], s[16:17], v[188:189]
	v_fma_f64 v[222:223], v[30:31], s[22:23], -v[38:39]
	v_fma_f64 v[38:39], v[30:31], s[22:23], v[38:39]
	v_mul_f64_e32 v[30:31], s[26:27], v[30:31]
	v_mul_f64_e32 v[46:47], s[40:41], v[42:43]
	v_add_f64_e32 v[20:21], v[20:21], v[144:145]
	v_add_f64_e32 v[52:53], v[198:199], v[52:53]
	v_add_f64_e32 v[14:15], v[188:189], v[14:15]
	v_add_f64_e32 v[82:83], v[222:223], v[88:89]
	v_add_f64_e32 v[32:33], v[38:39], v[32:33]
	v_add_f64_e64 v[30:31], v[30:31], -v[230:231]
	v_fma_f64 v[237:238], v[34:35], s[30:31], -v[46:47]
	v_fma_f64 v[46:47], v[34:35], s[30:31], v[46:47]
	v_add_f64_e32 v[88:89], v[211:212], v[190:191]
	s_delay_alu instid0(VALU_DEP_4) | instskip(SKIP_1) | instid1(VALU_DEP_4)
	v_add_f64_e32 v[0:1], v[30:31], v[0:1]
	v_mul_f64_e32 v[30:31], s[42:43], v[28:29]
	v_add_f64_e32 v[46:47], v[46:47], v[14:15]
	s_delay_alu instid0(VALU_DEP_2)
	v_fma_f64 v[144:145], v[24:25], s[10:11], -v[30:31]
	v_fma_f64 v[164:165], v[24:25], s[10:11], v[30:31]
	s_wait_loadcnt 0x0
	v_add_f64_e32 v[12:13], v[16:17], v[12:13]
	scratch_load_b64 v[16:17], off, off offset:500 th:TH_LOAD_LU ; 8-byte Folded Reload
	s_wait_loadcnt 0x0
	v_add_f64_e32 v[4:5], v[4:5], v[16:17]
	scratch_load_b64 v[16:17], off, off offset:492 th:TH_LOAD_LU ; 8-byte Folded Reload
	s_wait_loadcnt 0x0
	v_add_f64_e32 v[8:9], v[8:9], v[16:17]
	v_mul_f64_e32 v[16:17], s[46:47], v[42:43]
	v_mul_f64_e32 v[42:43], s[14:15], v[42:43]
	s_delay_alu instid0(VALU_DEP_2) | instskip(SKIP_1) | instid1(VALU_DEP_3)
	v_fma_f64 v[230:231], v[34:35], s[16:17], v[16:17]
	v_fma_f64 v[16:17], v[34:35], s[16:17], -v[16:17]
	v_fma_f64 v[239:240], v[34:35], s[12:13], -v[42:43]
	v_fma_f64 v[42:43], v[34:35], s[12:13], v[42:43]
	v_mul_f64_e32 v[34:35], s[36:37], v[34:35]
	s_delay_alu instid0(VALU_DEP_4) | instskip(NEXT) | instid1(VALU_DEP_3)
	v_add_f64_e32 v[44:45], v[16:17], v[20:21]
	v_add_f64_e32 v[32:33], v[42:43], v[32:33]
	s_delay_alu instid0(VALU_DEP_3)
	v_add_f64_e64 v[34:35], v[34:35], -v[241:242]
	scratch_load_b64 v[241:242], off, off offset:468 th:TH_LOAD_LU ; 8-byte Folded Reload
	v_add_f64_e32 v[42:43], v[12:13], v[2:3]
	s_wait_loadcnt 0x0
	v_add_f64_e32 v[4:5], v[4:5], v[241:242]
	scratch_load_b64 v[241:242], off, off offset:460 th:TH_LOAD_LU ; 8-byte Folded Reload
	v_add_f64_e32 v[4:5], v[4:5], v[18:19]
	scratch_load_b64 v[18:19], off, off offset:828 th:TH_LOAD_LU ; 8-byte Folded Reload
	s_wait_loadcnt 0x1
	v_add_f64_e32 v[8:9], v[8:9], v[241:242]
	scratch_load_b64 v[241:242], off, off offset:692 th:TH_LOAD_LU ; 8-byte Folded Reload
	s_wait_loadcnt 0x1
	v_add_f64_e32 v[8:9], v[8:9], v[18:19]
	v_mul_f64_e32 v[18:19], s[24:25], v[28:29]
	v_mul_f64_e32 v[28:29], s[28:29], v[28:29]
	s_delay_alu instid0(VALU_DEP_2) | instskip(NEXT) | instid1(VALU_DEP_2)
	v_fma_f64 v[38:39], v[24:25], s[20:21], v[18:19]
	v_fma_f64 v[30:31], v[24:25], s[26:27], -v[28:29]
	v_fma_f64 v[166:167], v[24:25], s[26:27], v[28:29]
	v_add_f64_e32 v[28:29], v[62:63], v[56:57]
	v_add_f64_e32 v[62:63], v[66:67], v[70:71]
	;; [unrolled: 1-line block ×4, first 2 shown]
	scratch_load_b64 v[0:1], off, off offset:836 th:TH_LOAD_LU ; 8-byte Folded Reload
	v_fma_f64 v[48:49], v[24:25], s[20:21], -v[18:19]
	v_mul_f64_e32 v[18:19], s[30:31], v[24:25]
	v_add_f64_e32 v[56:57], v[218:219], v[72:73]
	v_add_f64_e32 v[72:73], v[196:197], v[84:85]
	;; [unrolled: 1-line block ×9, first 2 shown]
	s_wait_loadcnt 0x0
	v_add_f64_e32 v[84:85], v[4:5], v[0:1]
	s_clause 0x1
	scratch_load_b64 v[4:5], off, off offset:716 th:TH_LOAD_LU
	scratch_load_b64 v[24:25], off, off offset:660 th:TH_LOAD_LU
	v_add_f64_e32 v[50:51], v[241:242], v[50:51]
	s_wait_loadcnt 0x0
	v_add_f64_e64 v[188:189], v[18:19], -v[24:25]
	v_add_f64_e32 v[18:19], v[140:141], v[146:147]
	v_add_f64_e32 v[24:25], v[230:231], v[52:53]
	;; [unrolled: 1-line block ×8, first 2 shown]
	scratch_load_b64 v[4:5], off, off offset:724 th:TH_LOAD_LU ; 8-byte Folded Reload
	v_add_f64_e32 v[88:89], v[8:9], v[54:55]
	v_add_f64_e32 v[10:11], v[58:59], v[56:57]
	;; [unrolled: 1-line block ×6, first 2 shown]
	scratch_load_b64 v[40:41], off, off offset:852 th:TH_LOAD_LU ; 8-byte Folded Reload
	v_add_f64_e32 v[0:1], v[38:39], v[24:25]
	v_add_f64_e32 v[38:39], v[50:51], v[42:43]
	;; [unrolled: 1-line block ×4, first 2 shown]
	scratch_load_b128 v[142:145], off, off offset:804 ; 16-byte Folded Reload
	v_add_f64_e32 v[24:25], v[48:49], v[44:45]
	v_add_f64_e32 v[14:15], v[235:236], v[64:65]
	v_add_f64_e32 v[34:35], v[90:91], v[78:79]
	s_wait_loadcnt 0x2
	v_add_f64_e32 v[4:5], v[4:5], v[52:53]
	s_wait_loadcnt 0x1
	v_add_f64_e32 v[42:43], v[84:85], v[40:41]
	s_clause 0x2
	scratch_load_b64 v[40:41], off, off offset:844 th:TH_LOAD_LU
	scratch_load_b32 v44, off, off
	scratch_load_b32 v45, off, off offset:4
	s_wait_loadcnt 0x2
	v_add_f64_e32 v[40:41], v[88:89], v[40:41]
	s_wait_loadcnt 0x0
	v_lshl_add_u32 v44, v44, 4, v45
	ds_store_b128 v44, v[172:175] offset:11648
	ds_store_b128 v44, v[168:171] offset:12480
	;; [unrolled: 1-line block ×15, first 2 shown]
	ds_store_b128 v255, v[40:43]
	scratch_load_b128 v[0:3], off, off offset:8 ; 16-byte Folded Reload
	s_wait_loadcnt 0x0
	ds_store_b128 v44, v[0:3] offset:13312
.LBB0_9:
	s_wait_alu 0xfffe
	s_or_b32 exec_lo, exec_lo, s1
	global_wb scope:SCOPE_SE
	s_wait_storecnt_dscnt 0x0
	s_barrier_signal -1
	s_barrier_wait -1
	global_inv scope:SCOPE_SE
	global_load_b128 v[4:7], v[204:205], off offset:14144
	ds_load_b128 v[0:3], v255
	s_add_nc_u64 s[8:9], s[8:9], 0x3740
	s_mov_b32 s18, 0x4267c47c
	s_mov_b32 s22, 0xe00740e9
	;; [unrolled: 1-line block ×20, first 2 shown]
	s_wait_alu 0xfffe
	s_mov_b32 s24, s18
	s_mov_b32 s15, 0xbfea55e2
	;; [unrolled: 1-line block ×14, first 2 shown]
	s_wait_loadcnt_dscnt 0x0
	v_mul_f64_e32 v[8:9], v[2:3], v[6:7]
	s_delay_alu instid0(VALU_DEP_1) | instskip(SKIP_1) | instid1(VALU_DEP_1)
	v_fma_f64 v[8:9], v[0:1], v[4:5], -v[8:9]
	v_mul_f64_e32 v[0:1], v[0:1], v[6:7]
	v_fma_f64 v[10:11], v[2:3], v[4:5], v[0:1]
	global_load_b128 v[4:7], v206, s[8:9] offset:1088
	ds_load_b128 v[0:3], v255 offset:1088
	ds_store_b128 v255, v[8:11]
	s_wait_loadcnt_dscnt 0x1
	v_mul_f64_e32 v[8:9], v[2:3], v[6:7]
	s_delay_alu instid0(VALU_DEP_1) | instskip(SKIP_1) | instid1(VALU_DEP_1)
	v_fma_f64 v[8:9], v[0:1], v[4:5], -v[8:9]
	v_mul_f64_e32 v[0:1], v[0:1], v[6:7]
	v_fma_f64 v[10:11], v[2:3], v[4:5], v[0:1]
	global_load_b128 v[4:7], v206, s[8:9] offset:2176
	ds_load_b128 v[0:3], v255 offset:2176
	ds_store_b128 v255, v[8:11] offset:1088
	s_wait_loadcnt_dscnt 0x1
	v_mul_f64_e32 v[8:9], v[2:3], v[6:7]
	s_delay_alu instid0(VALU_DEP_1) | instskip(SKIP_1) | instid1(VALU_DEP_1)
	v_fma_f64 v[8:9], v[0:1], v[4:5], -v[8:9]
	v_mul_f64_e32 v[0:1], v[0:1], v[6:7]
	v_fma_f64 v[10:11], v[2:3], v[4:5], v[0:1]
	ds_store_b128 v255, v[8:11] offset:2176
	s_clause 0x1
	scratch_load_b32 v0, off, off
	scratch_load_b32 v1, off, off offset:4
	global_load_b128 v[4:7], v206, s[8:9] offset:3264
	s_wait_loadcnt 0x1
	v_lshl_add_u32 v233, v0, 4, v1
	ds_load_b128 v[0:3], v233 offset:3264
	s_wait_loadcnt_dscnt 0x0
	v_mul_f64_e32 v[8:9], v[2:3], v[6:7]
	s_delay_alu instid0(VALU_DEP_1) | instskip(SKIP_1) | instid1(VALU_DEP_1)
	v_fma_f64 v[8:9], v[0:1], v[4:5], -v[8:9]
	v_mul_f64_e32 v[0:1], v[0:1], v[6:7]
	v_fma_f64 v[10:11], v[2:3], v[4:5], v[0:1]
	global_load_b128 v[4:7], v206, s[8:9] offset:4352
	ds_load_b128 v[0:3], v255 offset:4352
	ds_store_b128 v233, v[8:11] offset:3264
	s_wait_loadcnt_dscnt 0x1
	v_mul_f64_e32 v[8:9], v[2:3], v[6:7]
	s_delay_alu instid0(VALU_DEP_1) | instskip(SKIP_1) | instid1(VALU_DEP_1)
	v_fma_f64 v[8:9], v[0:1], v[4:5], -v[8:9]
	v_mul_f64_e32 v[0:1], v[0:1], v[6:7]
	v_fma_f64 v[10:11], v[2:3], v[4:5], v[0:1]
	global_load_b128 v[4:7], v206, s[8:9] offset:5440
	ds_load_b128 v[0:3], v255 offset:5440
	ds_store_b128 v255, v[8:11] offset:4352
	;; [unrolled: 9-line block ×8, first 2 shown]
	s_wait_loadcnt_dscnt 0x1
	v_mul_f64_e32 v[8:9], v[2:3], v[6:7]
	s_delay_alu instid0(VALU_DEP_1) | instskip(SKIP_1) | instid1(VALU_DEP_1)
	v_fma_f64 v[8:9], v[0:1], v[4:5], -v[8:9]
	v_mul_f64_e32 v[0:1], v[0:1], v[6:7]
	v_fma_f64 v[10:11], v[2:3], v[4:5], v[0:1]
	global_load_b128 v[4:7], v206, s[8:9] offset:13056
	ds_load_b128 v[0:3], v255 offset:13056
	s_mov_b32 s9, 0x3fefc445
	s_mov_b32 s8, s12
	ds_store_b128 v255, v[8:11] offset:11968
	s_wait_loadcnt_dscnt 0x1
	v_mul_f64_e32 v[8:9], v[2:3], v[6:7]
	s_delay_alu instid0(VALU_DEP_1) | instskip(SKIP_1) | instid1(VALU_DEP_1)
	v_fma_f64 v[8:9], v[0:1], v[4:5], -v[8:9]
	v_mul_f64_e32 v[0:1], v[0:1], v[6:7]
	v_fma_f64 v[10:11], v[2:3], v[4:5], v[0:1]
	ds_store_b128 v255, v[8:11] offset:13056
	global_wb scope:SCOPE_SE
	s_wait_dscnt 0x0
	s_barrier_signal -1
	s_barrier_wait -1
	global_inv scope:SCOPE_SE
	ds_load_b128 v[224:227], v255
	ds_load_b128 v[6:9], v255 offset:1088
	ds_load_b128 v[216:219], v255 offset:2176
	;; [unrolled: 1-line block ×12, first 2 shown]
	global_wb scope:SCOPE_SE
	s_wait_dscnt 0x0
	s_barrier_signal -1
	s_barrier_wait -1
	global_inv scope:SCOPE_SE
	v_add_f64_e32 v[0:1], v[224:225], v[6:7]
	v_add_f64_e32 v[2:3], v[226:227], v[8:9]
	;; [unrolled: 1-line block ×3, first 2 shown]
	v_add_f64_e64 v[76:77], v[192:193], -v[196:197]
	v_add_f64_e64 v[54:55], v[218:219], -v[222:223]
	v_add_f64_e32 v[4:5], v[8:9], v[12:13]
	v_add_f64_e64 v[52:53], v[216:217], -v[220:221]
	v_add_f64_e32 v[0:1], v[0:1], v[216:217]
	v_add_f64_e32 v[2:3], v[2:3], v[218:219]
	s_wait_alu 0xfffe
	v_mul_f64_e32 v[56:57], s[14:15], v[54:55]
	v_mul_f64_e32 v[20:21], s[16:17], v[4:5]
	;; [unrolled: 1-line block ×5, first 2 shown]
	v_add_f64_e32 v[0:1], v[0:1], v[208:209]
	v_add_f64_e32 v[2:3], v[2:3], v[210:211]
	s_delay_alu instid0(VALU_DEP_2) | instskip(NEXT) | instid1(VALU_DEP_2)
	v_add_f64_e32 v[0:1], v[0:1], v[200:201]
	v_add_f64_e32 v[2:3], v[2:3], v[202:203]
	s_delay_alu instid0(VALU_DEP_2) | instskip(NEXT) | instid1(VALU_DEP_2)
	;; [unrolled: 3-line block ×9, first 2 shown]
	v_add_f64_e32 v[180:181], v[0:1], v[10:11]
	v_add_f64_e32 v[182:183], v[2:3], v[12:13]
	;; [unrolled: 1-line block ×3, first 2 shown]
	v_add_f64_e64 v[2:3], v[6:7], -v[10:11]
	v_add_f64_e64 v[6:7], v[8:9], -v[12:13]
	v_mul_f64_e32 v[12:13], s[22:23], v[4:5]
	v_mul_f64_e32 v[4:5], s[42:43], v[4:5]
	s_delay_alu instid0(VALU_DEP_4) | instskip(NEXT) | instid1(VALU_DEP_4)
	v_fma_f64 v[22:23], v[2:3], s[20:21], v[20:21]
	v_mul_f64_e32 v[8:9], s[18:19], v[6:7]
	s_delay_alu instid0(VALU_DEP_4)
	v_fma_f64 v[14:15], v[2:3], s[24:25], v[12:13]
	v_fma_f64 v[12:13], v[2:3], s[18:19], v[12:13]
	v_mul_f64_e32 v[16:17], s[14:15], v[6:7]
	v_fma_f64 v[20:21], v[2:3], s[14:15], v[20:21]
	v_mul_f64_e32 v[24:25], s[12:13], v[6:7]
	v_fma_f64 v[30:31], v[2:3], s[8:9], v[28:29]
	v_fma_f64 v[28:29], v[2:3], s[12:13], v[28:29]
	v_mul_f64_e32 v[32:33], s[26:27], v[6:7]
	v_fma_f64 v[38:39], v[2:3], s[30:31], v[36:37]
	;; [unrolled: 3-line block ×4, first 2 shown]
	v_fma_f64 v[2:3], v[2:3], s[40:41], v[4:5]
	v_add_f64_e32 v[4:5], v[216:217], v[220:221]
	v_add_f64_e32 v[22:23], v[226:227], v[22:23]
	v_fma_f64 v[10:11], v[0:1], s[22:23], v[8:9]
	v_fma_f64 v[8:9], v[0:1], s[22:23], -v[8:9]
	v_add_f64_e32 v[12:13], v[226:227], v[12:13]
	v_fma_f64 v[18:19], v[0:1], s[16:17], v[16:17]
	v_fma_f64 v[16:17], v[0:1], s[16:17], -v[16:17]
	v_fma_f64 v[26:27], v[0:1], s[10:11], v[24:25]
	v_fma_f64 v[24:25], v[0:1], s[10:11], -v[24:25]
	v_add_f64_e32 v[20:21], v[226:227], v[20:21]
	v_fma_f64 v[34:35], v[0:1], s[28:29], v[32:33]
	v_fma_f64 v[32:33], v[0:1], s[28:29], -v[32:33]
	v_add_f64_e32 v[14:15], v[226:227], v[14:15]
	;; [unrolled: 3-line block ×5, first 2 shown]
	v_add_f64_e32 v[30:31], v[226:227], v[30:31]
	v_add_f64_e32 v[44:45], v[226:227], v[44:45]
	;; [unrolled: 1-line block ×19, first 2 shown]
	v_mul_f64_e32 v[58:59], s[16:17], v[6:7]
	v_add_f64_e32 v[8:9], v[56:57], v[8:9]
	s_delay_alu instid0(VALU_DEP_2) | instskip(SKIP_1) | instid1(VALU_DEP_2)
	v_fma_f64 v[56:57], v[52:53], s[14:15], v[58:59]
	v_fma_f64 v[60:61], v[52:53], s[20:21], v[58:59]
	v_add_f64_e32 v[12:13], v[56:57], v[12:13]
	v_mul_f64_e32 v[56:57], s[26:27], v[54:55]
	s_delay_alu instid0(VALU_DEP_3) | instskip(NEXT) | instid1(VALU_DEP_2)
	v_add_f64_e32 v[14:15], v[60:61], v[14:15]
	v_fma_f64 v[58:59], v[4:5], s[28:29], v[56:57]
	v_fma_f64 v[56:57], v[4:5], s[28:29], -v[56:57]
	s_delay_alu instid0(VALU_DEP_2) | instskip(SKIP_1) | instid1(VALU_DEP_3)
	v_add_f64_e32 v[18:19], v[58:59], v[18:19]
	v_mul_f64_e32 v[58:59], s[28:29], v[6:7]
	v_add_f64_e32 v[16:17], v[56:57], v[16:17]
	s_delay_alu instid0(VALU_DEP_2) | instskip(SKIP_1) | instid1(VALU_DEP_2)
	v_fma_f64 v[56:57], v[52:53], s[26:27], v[58:59]
	v_fma_f64 v[60:61], v[52:53], s[30:31], v[58:59]
	v_add_f64_e32 v[20:21], v[56:57], v[20:21]
	v_mul_f64_e32 v[56:57], s[40:41], v[54:55]
	s_delay_alu instid0(VALU_DEP_3) | instskip(NEXT) | instid1(VALU_DEP_2)
	v_add_f64_e32 v[22:23], v[60:61], v[22:23]
	v_fma_f64 v[58:59], v[4:5], s[42:43], v[56:57]
	v_fma_f64 v[56:57], v[4:5], s[42:43], -v[56:57]
	s_delay_alu instid0(VALU_DEP_2) | instskip(SKIP_1) | instid1(VALU_DEP_3)
	v_add_f64_e32 v[26:27], v[58:59], v[26:27]
	;; [unrolled: 13-line block ×3, first 2 shown]
	v_mul_f64_e32 v[58:59], s[36:37], v[6:7]
	v_add_f64_e32 v[32:33], v[56:57], v[32:33]
	s_delay_alu instid0(VALU_DEP_2) | instskip(SKIP_1) | instid1(VALU_DEP_2)
	v_fma_f64 v[56:57], v[52:53], s[38:39], v[58:59]
	v_fma_f64 v[60:61], v[52:53], s[34:35], v[58:59]
	v_add_f64_e32 v[36:37], v[56:57], v[36:37]
	v_mul_f64_e32 v[56:57], s[8:9], v[54:55]
	v_mul_f64_e32 v[54:55], s[24:25], v[54:55]
	s_delay_alu instid0(VALU_DEP_4) | instskip(NEXT) | instid1(VALU_DEP_3)
	v_add_f64_e32 v[38:39], v[60:61], v[38:39]
	v_fma_f64 v[58:59], v[4:5], s[10:11], v[56:57]
	v_fma_f64 v[56:57], v[4:5], s[10:11], -v[56:57]
	s_delay_alu instid0(VALU_DEP_2) | instskip(SKIP_1) | instid1(VALU_DEP_3)
	v_add_f64_e32 v[42:43], v[58:59], v[42:43]
	v_mul_f64_e32 v[58:59], s[10:11], v[6:7]
	v_add_f64_e32 v[40:41], v[56:57], v[40:41]
	v_mul_f64_e32 v[6:7], s[22:23], v[6:7]
	s_delay_alu instid0(VALU_DEP_3) | instskip(SKIP_1) | instid1(VALU_DEP_2)
	v_fma_f64 v[56:57], v[52:53], s[8:9], v[58:59]
	v_fma_f64 v[60:61], v[52:53], s[12:13], v[58:59]
	v_add_f64_e32 v[44:45], v[56:57], v[44:45]
	v_fma_f64 v[56:57], v[4:5], s[22:23], v[54:55]
	v_fma_f64 v[4:5], v[4:5], s[22:23], -v[54:55]
	v_add_f64_e64 v[54:55], v[210:211], -v[214:215]
	v_add_f64_e32 v[46:47], v[60:61], v[46:47]
	s_delay_alu instid0(VALU_DEP_4)
	v_add_f64_e32 v[48:49], v[56:57], v[48:49]
	v_fma_f64 v[56:57], v[52:53], s[18:19], v[6:7]
	v_add_f64_e32 v[0:1], v[4:5], v[0:1]
	v_fma_f64 v[4:5], v[52:53], s[24:25], v[6:7]
	v_add_f64_e32 v[6:7], v[210:211], v[214:215]
	v_add_f64_e64 v[52:53], v[208:209], -v[212:213]
	v_add_f64_e32 v[50:51], v[56:57], v[50:51]
	v_mul_f64_e32 v[56:57], s[12:13], v[54:55]
	v_add_f64_e32 v[2:3], v[4:5], v[2:3]
	v_add_f64_e32 v[4:5], v[208:209], v[212:213]
	s_delay_alu instid0(VALU_DEP_1) | instskip(SKIP_1) | instid1(VALU_DEP_2)
	v_fma_f64 v[58:59], v[4:5], s[10:11], v[56:57]
	v_fma_f64 v[56:57], v[4:5], s[10:11], -v[56:57]
	v_add_f64_e32 v[10:11], v[58:59], v[10:11]
	v_mul_f64_e32 v[58:59], s[10:11], v[6:7]
	s_delay_alu instid0(VALU_DEP_3) | instskip(NEXT) | instid1(VALU_DEP_2)
	v_add_f64_e32 v[8:9], v[56:57], v[8:9]
	v_fma_f64 v[56:57], v[52:53], s[12:13], v[58:59]
	v_fma_f64 v[60:61], v[52:53], s[8:9], v[58:59]
	s_delay_alu instid0(VALU_DEP_2) | instskip(SKIP_1) | instid1(VALU_DEP_3)
	v_add_f64_e32 v[12:13], v[56:57], v[12:13]
	v_mul_f64_e32 v[56:57], s[40:41], v[54:55]
	v_add_f64_e32 v[14:15], v[60:61], v[14:15]
	s_delay_alu instid0(VALU_DEP_2) | instskip(SKIP_1) | instid1(VALU_DEP_2)
	v_fma_f64 v[58:59], v[4:5], s[42:43], v[56:57]
	v_fma_f64 v[56:57], v[4:5], s[42:43], -v[56:57]
	v_add_f64_e32 v[18:19], v[58:59], v[18:19]
	v_mul_f64_e32 v[58:59], s[42:43], v[6:7]
	s_delay_alu instid0(VALU_DEP_3) | instskip(NEXT) | instid1(VALU_DEP_2)
	v_add_f64_e32 v[16:17], v[56:57], v[16:17]
	v_fma_f64 v[56:57], v[52:53], s[40:41], v[58:59]
	v_fma_f64 v[60:61], v[52:53], s[44:45], v[58:59]
	s_delay_alu instid0(VALU_DEP_2) | instskip(SKIP_1) | instid1(VALU_DEP_3)
	v_add_f64_e32 v[20:21], v[56:57], v[20:21]
	v_mul_f64_e32 v[56:57], s[30:31], v[54:55]
	v_add_f64_e32 v[22:23], v[60:61], v[22:23]
	s_delay_alu instid0(VALU_DEP_2) | instskip(SKIP_1) | instid1(VALU_DEP_2)
	;; [unrolled: 13-line block ×3, first 2 shown]
	v_fma_f64 v[58:59], v[4:5], s[22:23], v[56:57]
	v_fma_f64 v[56:57], v[4:5], s[22:23], -v[56:57]
	v_add_f64_e32 v[34:35], v[58:59], v[34:35]
	v_mul_f64_e32 v[58:59], s[22:23], v[6:7]
	s_delay_alu instid0(VALU_DEP_3) | instskip(NEXT) | instid1(VALU_DEP_2)
	v_add_f64_e32 v[32:33], v[56:57], v[32:33]
	v_fma_f64 v[56:57], v[52:53], s[24:25], v[58:59]
	v_fma_f64 v[60:61], v[52:53], s[18:19], v[58:59]
	s_delay_alu instid0(VALU_DEP_2) | instskip(SKIP_2) | instid1(VALU_DEP_4)
	v_add_f64_e32 v[36:37], v[56:57], v[36:37]
	v_mul_f64_e32 v[56:57], s[14:15], v[54:55]
	v_mul_f64_e32 v[54:55], s[34:35], v[54:55]
	v_add_f64_e32 v[38:39], v[60:61], v[38:39]
	s_delay_alu instid0(VALU_DEP_3) | instskip(SKIP_1) | instid1(VALU_DEP_2)
	v_fma_f64 v[58:59], v[4:5], s[16:17], v[56:57]
	v_fma_f64 v[56:57], v[4:5], s[16:17], -v[56:57]
	v_add_f64_e32 v[42:43], v[58:59], v[42:43]
	v_mul_f64_e32 v[58:59], s[16:17], v[6:7]
	s_delay_alu instid0(VALU_DEP_3) | instskip(SKIP_1) | instid1(VALU_DEP_3)
	v_add_f64_e32 v[40:41], v[56:57], v[40:41]
	v_mul_f64_e32 v[6:7], s[36:37], v[6:7]
	v_fma_f64 v[56:57], v[52:53], s[14:15], v[58:59]
	v_fma_f64 v[60:61], v[52:53], s[20:21], v[58:59]
	s_delay_alu instid0(VALU_DEP_2) | instskip(SKIP_4) | instid1(VALU_DEP_4)
	v_add_f64_e32 v[44:45], v[56:57], v[44:45]
	v_fma_f64 v[56:57], v[4:5], s[36:37], v[54:55]
	v_fma_f64 v[4:5], v[4:5], s[36:37], -v[54:55]
	v_add_f64_e64 v[54:55], v[202:203], -v[206:207]
	v_add_f64_e32 v[46:47], v[60:61], v[46:47]
	v_add_f64_e32 v[48:49], v[56:57], v[48:49]
	v_fma_f64 v[56:57], v[52:53], s[38:39], v[6:7]
	v_add_f64_e32 v[0:1], v[4:5], v[0:1]
	v_fma_f64 v[4:5], v[52:53], s[34:35], v[6:7]
	v_add_f64_e32 v[6:7], v[202:203], v[206:207]
	v_add_f64_e64 v[52:53], v[200:201], -v[204:205]
	v_add_f64_e32 v[50:51], v[56:57], v[50:51]
	v_mul_f64_e32 v[56:57], s[26:27], v[54:55]
	v_add_f64_e32 v[2:3], v[4:5], v[2:3]
	v_add_f64_e32 v[4:5], v[200:201], v[204:205]
	s_delay_alu instid0(VALU_DEP_1) | instskip(SKIP_1) | instid1(VALU_DEP_2)
	v_fma_f64 v[58:59], v[4:5], s[28:29], v[56:57]
	v_fma_f64 v[56:57], v[4:5], s[28:29], -v[56:57]
	v_add_f64_e32 v[10:11], v[58:59], v[10:11]
	v_mul_f64_e32 v[58:59], s[28:29], v[6:7]
	s_delay_alu instid0(VALU_DEP_3) | instskip(NEXT) | instid1(VALU_DEP_2)
	v_add_f64_e32 v[8:9], v[56:57], v[8:9]
	v_fma_f64 v[56:57], v[52:53], s[26:27], v[58:59]
	v_fma_f64 v[60:61], v[52:53], s[30:31], v[58:59]
	s_delay_alu instid0(VALU_DEP_2) | instskip(SKIP_1) | instid1(VALU_DEP_3)
	v_add_f64_e32 v[12:13], v[56:57], v[12:13]
	v_mul_f64_e32 v[56:57], s[38:39], v[54:55]
	v_add_f64_e32 v[14:15], v[60:61], v[14:15]
	s_delay_alu instid0(VALU_DEP_2) | instskip(SKIP_1) | instid1(VALU_DEP_2)
	v_fma_f64 v[58:59], v[4:5], s[36:37], v[56:57]
	v_fma_f64 v[56:57], v[4:5], s[36:37], -v[56:57]
	v_add_f64_e32 v[18:19], v[58:59], v[18:19]
	v_mul_f64_e32 v[58:59], s[36:37], v[6:7]
	s_delay_alu instid0(VALU_DEP_3) | instskip(NEXT) | instid1(VALU_DEP_2)
	v_add_f64_e32 v[16:17], v[56:57], v[16:17]
	v_fma_f64 v[56:57], v[52:53], s[38:39], v[58:59]
	v_fma_f64 v[60:61], v[52:53], s[34:35], v[58:59]
	s_delay_alu instid0(VALU_DEP_2) | instskip(SKIP_1) | instid1(VALU_DEP_3)
	v_add_f64_e32 v[20:21], v[56:57], v[20:21]
	v_mul_f64_e32 v[56:57], s[24:25], v[54:55]
	v_add_f64_e32 v[22:23], v[60:61], v[22:23]
	s_delay_alu instid0(VALU_DEP_2) | instskip(SKIP_1) | instid1(VALU_DEP_2)
	;; [unrolled: 13-line block ×4, first 2 shown]
	v_fma_f64 v[32:33], v[4:5], s[42:43], v[28:29]
	v_fma_f64 v[28:29], v[4:5], s[42:43], -v[28:29]
	v_add_f64_e32 v[66:67], v[32:33], v[42:43]
	v_mul_f64_e32 v[32:33], s[42:43], v[6:7]
	s_delay_alu instid0(VALU_DEP_3) | instskip(SKIP_1) | instid1(VALU_DEP_3)
	v_add_f64_e32 v[70:71], v[28:29], v[40:41]
	v_mul_f64_e32 v[6:7], s[16:17], v[6:7]
	v_fma_f64 v[28:29], v[52:53], s[44:45], v[32:33]
	v_fma_f64 v[34:35], v[52:53], s[40:41], v[32:33]
	s_delay_alu instid0(VALU_DEP_2) | instskip(SKIP_1) | instid1(VALU_DEP_3)
	v_add_f64_e32 v[44:45], v[28:29], v[44:45]
	v_mul_f64_e32 v[28:29], s[20:21], v[54:55]
	v_add_f64_e32 v[68:69], v[34:35], v[46:47]
	s_delay_alu instid0(VALU_DEP_2) | instskip(SKIP_1) | instid1(VALU_DEP_2)
	v_fma_f64 v[32:33], v[4:5], s[16:17], v[28:29]
	v_fma_f64 v[4:5], v[4:5], s[16:17], -v[28:29]
	v_add_f64_e32 v[54:55], v[32:33], v[48:49]
	v_fma_f64 v[32:33], v[52:53], s[14:15], v[6:7]
	s_delay_alu instid0(VALU_DEP_3) | instskip(SKIP_2) | instid1(VALU_DEP_4)
	v_add_f64_e32 v[0:1], v[4:5], v[0:1]
	v_fma_f64 v[4:5], v[52:53], s[20:21], v[6:7]
	v_add_f64_e64 v[6:7], v[194:195], -v[198:199]
	v_add_f64_e32 v[72:73], v[32:33], v[50:51]
	s_delay_alu instid0(VALU_DEP_3) | instskip(SKIP_1) | instid1(VALU_DEP_4)
	v_add_f64_e32 v[4:5], v[4:5], v[2:3]
	v_add_f64_e32 v[2:3], v[192:193], v[196:197]
	v_mul_f64_e32 v[28:29], s[34:35], v[6:7]
	s_delay_alu instid0(VALU_DEP_1) | instskip(NEXT) | instid1(VALU_DEP_1)
	v_fma_f64 v[32:33], v[2:3], s[36:37], v[28:29]
	v_add_f64_e32 v[46:47], v[32:33], v[10:11]
	v_mul_f64_e32 v[10:11], s[36:37], v[74:75]
	s_delay_alu instid0(VALU_DEP_1) | instskip(NEXT) | instid1(VALU_DEP_1)
	v_fma_f64 v[32:33], v[76:77], s[38:39], v[10:11]
	v_add_f64_e32 v[48:49], v[32:33], v[14:15]
	v_fma_f64 v[14:15], v[2:3], s[36:37], -v[28:29]
	s_delay_alu instid0(VALU_DEP_1) | instskip(SKIP_1) | instid1(VALU_DEP_1)
	v_add_f64_e32 v[50:51], v[14:15], v[8:9]
	v_fma_f64 v[8:9], v[76:77], s[34:35], v[10:11]
	v_add_f64_e32 v[52:53], v[8:9], v[12:13]
	v_mul_f64_e32 v[8:9], s[8:9], v[6:7]
	s_delay_alu instid0(VALU_DEP_1) | instskip(SKIP_1) | instid1(VALU_DEP_2)
	v_fma_f64 v[10:11], v[2:3], s[10:11], v[8:9]
	v_fma_f64 v[8:9], v[2:3], s[10:11], -v[8:9]
	v_add_f64_e32 v[36:37], v[10:11], v[18:19]
	v_mul_f64_e32 v[10:11], s[10:11], v[74:75]
	s_delay_alu instid0(VALU_DEP_3) | instskip(SKIP_2) | instid1(VALU_DEP_4)
	v_add_f64_e32 v[40:41], v[8:9], v[16:17]
	v_mul_f64_e32 v[18:19], s[26:27], v[6:7]
	v_mul_f64_e32 v[16:17], s[22:23], v[74:75]
	v_fma_f64 v[8:9], v[76:77], s[8:9], v[10:11]
	v_fma_f64 v[12:13], v[76:77], s[12:13], v[10:11]
	s_delay_alu instid0(VALU_DEP_2) | instskip(SKIP_1) | instid1(VALU_DEP_3)
	v_add_f64_e32 v[42:43], v[8:9], v[20:21]
	v_mul_f64_e32 v[8:9], s[14:15], v[6:7]
	v_add_f64_e32 v[38:39], v[12:13], v[22:23]
	s_delay_alu instid0(VALU_DEP_2) | instskip(SKIP_1) | instid1(VALU_DEP_2)
	v_fma_f64 v[10:11], v[2:3], s[16:17], v[8:9]
	v_fma_f64 v[8:9], v[2:3], s[16:17], -v[8:9]
	v_add_f64_e32 v[28:29], v[10:11], v[26:27]
	v_mul_f64_e32 v[10:11], s[16:17], v[74:75]
	s_delay_alu instid0(VALU_DEP_3) | instskip(NEXT) | instid1(VALU_DEP_2)
	v_add_f64_e32 v[32:33], v[8:9], v[24:25]
	v_fma_f64 v[8:9], v[76:77], s[14:15], v[10:11]
	v_fma_f64 v[12:13], v[76:77], s[20:21], v[10:11]
	s_delay_alu instid0(VALU_DEP_2) | instskip(SKIP_1) | instid1(VALU_DEP_3)
	v_add_f64_e32 v[34:35], v[8:9], v[56:57]
	v_mul_f64_e32 v[8:9], s[44:45], v[6:7]
	v_add_f64_e32 v[30:31], v[12:13], v[30:31]
	s_delay_alu instid0(VALU_DEP_2) | instskip(SKIP_1) | instid1(VALU_DEP_2)
	v_fma_f64 v[10:11], v[2:3], s[42:43], v[8:9]
	v_fma_f64 v[8:9], v[2:3], s[42:43], -v[8:9]
	v_add_f64_e32 v[20:21], v[10:11], v[58:59]
	v_mul_f64_e32 v[10:11], s[42:43], v[74:75]
	s_delay_alu instid0(VALU_DEP_3) | instskip(NEXT) | instid1(VALU_DEP_2)
	v_add_f64_e32 v[24:25], v[8:9], v[62:63]
	v_fma_f64 v[8:9], v[76:77], s[44:45], v[10:11]
	v_fma_f64 v[12:13], v[76:77], s[40:41], v[10:11]
	s_delay_alu instid0(VALU_DEP_2) | instskip(SKIP_2) | instid1(VALU_DEP_4)
	v_add_f64_e32 v[26:27], v[8:9], v[64:65]
	v_mul_f64_e32 v[8:9], s[24:25], v[6:7]
	v_fma_f64 v[6:7], v[2:3], s[28:29], v[18:19]
	v_add_f64_e32 v[22:23], v[12:13], v[60:61]
	v_fma_f64 v[12:13], v[76:77], s[18:19], v[16:17]
	s_delay_alu instid0(VALU_DEP_4)
	v_fma_f64 v[10:11], v[2:3], s[22:23], v[8:9]
	v_fma_f64 v[8:9], v[2:3], s[22:23], -v[8:9]
	v_add_f64_e32 v[6:7], v[6:7], v[54:55]
	v_add_f64_e64 v[54:55], v[186:187], -v[190:191]
	v_fma_f64 v[2:3], v[2:3], s[28:29], -v[18:19]
	v_add_f64_e32 v[18:19], v[184:185], v[188:189]
	v_add_f64_e32 v[12:13], v[12:13], v[68:69]
	;; [unrolled: 1-line block ×4, first 2 shown]
	v_fma_f64 v[8:9], v[76:77], s[24:25], v[16:17]
	v_mul_f64_e32 v[56:57], s[40:41], v[54:55]
	v_add_f64_e32 v[2:3], v[2:3], v[0:1]
	s_delay_alu instid0(VALU_DEP_3) | instskip(SKIP_1) | instid1(VALU_DEP_4)
	v_add_f64_e32 v[16:17], v[8:9], v[44:45]
	v_mul_f64_e32 v[44:45], s[28:29], v[74:75]
	v_fma_f64 v[58:59], v[18:19], s[42:43], v[56:57]
	s_delay_alu instid0(VALU_DEP_2) | instskip(SKIP_2) | instid1(VALU_DEP_4)
	v_fma_f64 v[8:9], v[76:77], s[30:31], v[44:45]
	v_fma_f64 v[0:1], v[76:77], s[26:27], v[44:45]
	v_add_f64_e32 v[44:45], v[186:187], v[190:191]
	v_add_f64_e32 v[192:193], v[58:59], v[46:47]
	s_delay_alu instid0(VALU_DEP_4) | instskip(NEXT) | instid1(VALU_DEP_4)
	v_add_f64_e32 v[8:9], v[8:9], v[72:73]
	v_add_f64_e32 v[0:1], v[0:1], v[4:5]
	v_add_f64_e64 v[4:5], v[184:185], -v[188:189]
	v_mul_f64_e32 v[46:47], s[42:43], v[44:45]
	s_delay_alu instid0(VALU_DEP_1) | instskip(SKIP_1) | instid1(VALU_DEP_2)
	v_fma_f64 v[58:59], v[4:5], s[44:45], v[46:47]
	v_fma_f64 v[46:47], v[4:5], s[40:41], v[46:47]
	v_add_f64_e32 v[194:195], v[58:59], v[48:49]
	v_fma_f64 v[48:49], v[18:19], s[42:43], -v[56:57]
	s_delay_alu instid0(VALU_DEP_3) | instskip(SKIP_1) | instid1(VALU_DEP_3)
	v_add_f64_e32 v[186:187], v[46:47], v[52:53]
	v_mul_f64_e32 v[46:47], s[24:25], v[54:55]
	v_add_f64_e32 v[184:185], v[48:49], v[50:51]
	s_delay_alu instid0(VALU_DEP_2) | instskip(NEXT) | instid1(VALU_DEP_1)
	v_fma_f64 v[48:49], v[18:19], s[22:23], v[46:47]
	v_add_f64_e32 v[196:197], v[48:49], v[36:37]
	v_mul_f64_e32 v[36:37], s[22:23], v[44:45]
	s_delay_alu instid0(VALU_DEP_1) | instskip(SKIP_1) | instid1(VALU_DEP_2)
	v_fma_f64 v[48:49], v[4:5], s[18:19], v[36:37]
	v_fma_f64 v[36:37], v[4:5], s[24:25], v[36:37]
	v_add_f64_e32 v[198:199], v[48:49], v[38:39]
	v_fma_f64 v[38:39], v[18:19], s[22:23], -v[46:47]
	s_delay_alu instid0(VALU_DEP_3) | instskip(SKIP_1) | instid1(VALU_DEP_3)
	v_add_f64_e32 v[190:191], v[36:37], v[42:43]
	v_mul_f64_e32 v[36:37], s[34:35], v[54:55]
	v_add_f64_e32 v[188:189], v[38:39], v[40:41]
	s_delay_alu instid0(VALU_DEP_2) | instskip(NEXT) | instid1(VALU_DEP_1)
	v_fma_f64 v[38:39], v[18:19], s[36:37], v[36:37]
	v_add_f64_e32 v[204:205], v[38:39], v[28:29]
	;; [unrolled: 13-line block ×3, first 2 shown]
	v_mul_f64_e32 v[20:21], s[16:17], v[44:45]
	s_delay_alu instid0(VALU_DEP_1) | instskip(SKIP_1) | instid1(VALU_DEP_2)
	v_fma_f64 v[30:31], v[4:5], s[14:15], v[20:21]
	v_fma_f64 v[20:21], v[4:5], s[20:21], v[20:21]
	v_add_f64_e32 v[214:215], v[30:31], v[22:23]
	v_fma_f64 v[22:23], v[18:19], s[16:17], -v[28:29]
	s_delay_alu instid0(VALU_DEP_3) | instskip(SKIP_1) | instid1(VALU_DEP_3)
	v_add_f64_e32 v[210:211], v[20:21], v[26:27]
	v_mul_f64_e32 v[20:21], s[26:27], v[54:55]
	v_add_f64_e32 v[208:209], v[22:23], v[24:25]
	s_delay_alu instid0(VALU_DEP_2) | instskip(SKIP_1) | instid1(VALU_DEP_2)
	v_fma_f64 v[22:23], v[18:19], s[28:29], v[20:21]
	v_fma_f64 v[20:21], v[18:19], s[28:29], -v[20:21]
	v_add_f64_e32 v[10:11], v[22:23], v[10:11]
	v_mul_f64_e32 v[22:23], s[28:29], v[44:45]
	s_delay_alu instid0(VALU_DEP_3) | instskip(NEXT) | instid1(VALU_DEP_2)
	v_add_f64_e32 v[14:15], v[20:21], v[14:15]
	v_fma_f64 v[20:21], v[4:5], s[26:27], v[22:23]
	v_fma_f64 v[24:25], v[4:5], s[30:31], v[22:23]
	s_delay_alu instid0(VALU_DEP_2) | instskip(SKIP_1) | instid1(VALU_DEP_3)
	v_add_f64_e32 v[16:17], v[20:21], v[16:17]
	v_mul_f64_e32 v[20:21], s[8:9], v[54:55]
	v_add_f64_e32 v[12:13], v[24:25], v[12:13]
	s_delay_alu instid0(VALU_DEP_2) | instskip(SKIP_1) | instid1(VALU_DEP_2)
	v_fma_f64 v[22:23], v[18:19], s[10:11], v[20:21]
	v_fma_f64 v[18:19], v[18:19], s[10:11], -v[20:21]
	v_add_f64_e32 v[6:7], v[22:23], v[6:7]
	v_mul_f64_e32 v[22:23], s[10:11], v[44:45]
	s_delay_alu instid0(VALU_DEP_3) | instskip(NEXT) | instid1(VALU_DEP_2)
	v_add_f64_e32 v[2:3], v[18:19], v[2:3]
	v_fma_f64 v[24:25], v[4:5], s[12:13], v[22:23]
	v_fma_f64 v[4:5], v[4:5], s[8:9], v[22:23]
	s_delay_alu instid0(VALU_DEP_2) | instskip(NEXT) | instid1(VALU_DEP_2)
	v_add_f64_e32 v[8:9], v[24:25], v[8:9]
	v_add_f64_e32 v[4:5], v[4:5], v[0:1]
	ds_store_b128 v232, v[180:183]
	ds_store_b128 v232, v[192:195] offset:16
	ds_store_b128 v232, v[196:199] offset:32
	;; [unrolled: 1-line block ×12, first 2 shown]
	global_wb scope:SCOPE_SE
	s_wait_dscnt 0x0
	s_barrier_signal -1
	s_barrier_wait -1
	global_inv scope:SCOPE_SE
	ds_load_b128 v[180:183], v255
	ds_load_b128 v[228:231], v255 offset:3536
	ds_load_b128 v[224:227], v255 offset:7072
	;; [unrolled: 1-line block ×11, first 2 shown]
	s_and_saveexec_b32 s1, vcc_lo
	s_cbranch_execz .LBB0_11
; %bb.10:
	ds_load_b128 v[176:179], v255 offset:6800
	ds_load_b128 v[172:175], v255 offset:10336
	;; [unrolled: 1-line block ×4, first 2 shown]
.LBB0_11:
	s_wait_alu 0xfffe
	s_or_b32 exec_lo, exec_lo, s1
	s_wait_dscnt 0xa
	v_mul_f64_e32 v[0:1], v[138:139], v[230:231]
	s_wait_dscnt 0x9
	v_mul_f64_e32 v[4:5], v[134:135], v[226:227]
	;; [unrolled: 2-line block ×4, first 2 shown]
	v_mul_f64_e32 v[34:35], v[98:99], v[204:205]
	global_wb scope:SCOPE_SE
	s_barrier_signal -1
	s_barrier_wait -1
	global_inv scope:SCOPE_SE
	v_mul_f64_e32 v[2:3], v[138:139], v[228:229]
	v_mul_f64_e32 v[6:7], v[134:135], v[224:225]
	;; [unrolled: 1-line block ×19, first 2 shown]
	v_fma_f64 v[0:1], v[136:137], v[228:229], v[0:1]
	v_fma_f64 v[4:5], v[132:133], v[224:225], v[4:5]
	;; [unrolled: 1-line block ×4, first 2 shown]
	v_fma_f64 v[34:35], v[96:97], v[206:207], -v[34:35]
	v_fma_f64 v[2:3], v[136:137], v[230:231], -v[2:3]
	;; [unrolled: 1-line block ×4, first 2 shown]
	v_fma_f64 v[40:41], v[108:109], v[172:173], v[40:41]
	v_fma_f64 v[42:43], v[108:109], v[174:175], -v[42:43]
	v_fma_f64 v[44:45], v[92:93], v[168:169], v[44:45]
	v_fma_f64 v[46:47], v[92:93], v[170:171], -v[46:47]
	;; [unrolled: 2-line block ×8, first 2 shown]
	v_add_f64_e64 v[4:5], v[180:181], -v[4:5]
	v_add_f64_e64 v[8:9], v[0:1], -v[8:9]
	;; [unrolled: 1-line block ×16, first 2 shown]
	v_fma_f64 v[48:49], v[180:181], 2.0, -v[4:5]
	v_fma_f64 v[0:1], v[0:1], 2.0, -v[8:9]
	;; [unrolled: 1-line block ×4, first 2 shown]
	v_add_f64_e32 v[108:109], v[4:5], v[10:11]
	v_add_f64_e64 v[110:111], v[6:7], -v[8:9]
	v_fma_f64 v[60:61], v[184:185], 2.0, -v[40:41]
	v_fma_f64 v[62:63], v[186:187], 2.0, -v[42:43]
	;; [unrolled: 1-line block ×6, first 2 shown]
	v_add_f64_e32 v[136:137], v[16:17], v[22:23]
	v_add_f64_e64 v[138:139], v[18:19], -v[20:21]
	v_fma_f64 v[56:57], v[192:193], 2.0, -v[28:29]
	v_fma_f64 v[58:59], v[194:195], 2.0, -v[30:31]
	v_fma_f64 v[24:25], v[24:25], 2.0, -v[32:33]
	v_fma_f64 v[26:27], v[26:27], 2.0, -v[34:35]
	v_fma_f64 v[36:37], v[36:37], 2.0, -v[44:45]
	v_fma_f64 v[38:39], v[38:39], 2.0, -v[46:47]
	v_add_f64_e32 v[168:169], v[28:29], v[34:35]
	v_add_f64_e64 v[170:171], v[30:31], -v[32:33]
	v_add_f64_e32 v[104:105], v[40:41], v[46:47]
	v_add_f64_e64 v[106:107], v[42:43], -v[44:45]
	v_add_f64_e64 v[96:97], v[48:49], -v[0:1]
	scratch_load_b32 v0, off, off offset:256 th:TH_LOAD_LU ; 4-byte Folded Reload
	v_add_f64_e64 v[98:99], v[50:51], -v[2:3]
	v_fma_f64 v[120:121], v[4:5], 2.0, -v[108:109]
	v_fma_f64 v[122:123], v[6:7], 2.0, -v[110:111]
	v_add_f64_e64 v[132:133], v[52:53], -v[12:13]
	v_add_f64_e64 v[134:135], v[54:55], -v[14:15]
	v_fma_f64 v[124:125], v[16:17], 2.0, -v[136:137]
	v_fma_f64 v[126:127], v[18:19], 2.0, -v[138:139]
	v_add_f64_e64 v[172:173], v[56:57], -v[24:25]
	v_add_f64_e64 v[174:175], v[58:59], -v[26:27]
	;; [unrolled: 1-line block ×4, first 2 shown]
	v_fma_f64 v[180:181], v[28:29], 2.0, -v[168:169]
	v_fma_f64 v[182:183], v[30:31], 2.0, -v[170:171]
	;; [unrolled: 1-line block ×6, first 2 shown]
	s_wait_loadcnt 0x0
	ds_store_b128 v0, v[96:99] offset:416
	ds_store_b128 v0, v[108:111] offset:624
	ds_store_b128 v0, v[92:95]
	ds_store_b128 v0, v[120:123] offset:208
	scratch_load_b32 v0, off, off offset:252 th:TH_LOAD_LU ; 4-byte Folded Reload
	v_fma_f64 v[116:117], v[52:53], 2.0, -v[132:133]
	v_fma_f64 v[118:119], v[54:55], 2.0, -v[134:135]
	;; [unrolled: 1-line block ×6, first 2 shown]
	s_wait_loadcnt 0x0
	ds_store_b128 v0, v[116:119]
	ds_store_b128 v0, v[124:127] offset:208
	ds_store_b128 v0, v[132:135] offset:416
	;; [unrolled: 1-line block ×3, first 2 shown]
	scratch_load_b32 v0, off, off offset:248 th:TH_LOAD_LU ; 4-byte Folded Reload
	s_wait_loadcnt 0x0
	ds_store_b128 v0, v[176:179]
	ds_store_b128 v0, v[180:183] offset:208
	ds_store_b128 v0, v[172:175] offset:416
	;; [unrolled: 1-line block ×3, first 2 shown]
	s_and_saveexec_b32 s1, vcc_lo
	s_cbranch_execz .LBB0_13
; %bb.12:
	s_clause 0x1
	scratch_load_b32 v0, off, off offset:240 th:TH_LOAD_LU
	scratch_load_b32 v1, off, off offset:244 th:TH_LOAD_LU
	s_wait_loadcnt 0x0
	v_mad_u16 v0, v0, 52, v1
	scratch_load_b32 v1, off, off offset:4 th:TH_LOAD_LU ; 4-byte Folded Reload
	v_and_b32_e32 v0, 0xffff, v0
	s_wait_loadcnt 0x0
	s_delay_alu instid0(VALU_DEP_1)
	v_lshl_add_u32 v0, v0, 4, v1
	ds_store_b128 v0, v[128:131]
	ds_store_b128 v0, v[112:115] offset:208
	ds_store_b128 v0, v[100:103] offset:416
	ds_store_b128 v0, v[104:107] offset:624
.LBB0_13:
	s_wait_alu 0xfffe
	s_or_b32 exec_lo, exec_lo, s1
	global_wb scope:SCOPE_SE
	s_wait_dscnt 0x0
	s_barrier_signal -1
	s_barrier_wait -1
	global_inv scope:SCOPE_SE
	s_and_saveexec_b32 s1, s0
	s_cbranch_execz .LBB0_15
; %bb.14:
	ds_load_b128 v[92:95], v255
	ds_load_b128 v[120:123], v255 offset:832
	ds_load_b128 v[96:99], v255 offset:1664
	ds_load_b128 v[108:111], v255 offset:2496
	ds_load_b128 v[116:119], v255 offset:3328
	ds_load_b128 v[124:127], v255 offset:4160
	ds_load_b128 v[132:135], v255 offset:4992
	ds_load_b128 v[136:139], v255 offset:5824
	ds_load_b128 v[176:179], v255 offset:6656
	ds_load_b128 v[180:183], v255 offset:7488
	ds_load_b128 v[172:175], v255 offset:8320
	ds_load_b128 v[168:171], v255 offset:9152
	ds_load_b128 v[128:131], v255 offset:9984
	ds_load_b128 v[112:115], v255 offset:10816
	ds_load_b128 v[100:103], v255 offset:11648
	ds_load_b128 v[104:107], v255 offset:12480
	ds_load_b128 v[0:3], v255 offset:13312
	s_wait_dscnt 0x0
	scratch_store_b128 off, v[0:3], off offset:8 ; 16-byte Folded Spill
.LBB0_15:
	s_wait_alu 0xfffe
	s_or_b32 exec_lo, exec_lo, s1
	s_and_saveexec_b32 s33, s0
	s_cbranch_execz .LBB0_17
; %bb.16:
	s_clause 0x1
	scratch_load_b128 v[2:5], off, off offset:404 th:TH_LOAD_LU
	scratch_load_b128 v[6:9], off, off offset:340 th:TH_LOAD_LU
	v_mul_f64_e32 v[0:1], v[158:159], v[178:179]
	s_mov_b32 s18, 0x7c9e640b
	s_mov_b32 s19, 0x3feca52d
	s_mov_b32 s31, 0xbfeca52d
	s_wait_alu 0xfffe
	s_mov_b32 s30, s18
	s_mov_b32 s12, 0xacd6c6b4
	;; [unrolled: 1-line block ×21, first 2 shown]
	s_wait_alu 0xfffe
	s_mov_b32 s26, s10
	s_mov_b32 s24, s22
	;; [unrolled: 1-line block ×13, first 2 shown]
	v_fma_f64 v[184:185], v[156:157], v[176:177], v[0:1]
	v_mul_f64_e32 v[0:1], v[158:159], v[176:177]
	s_mov_b32 s39, 0x3fedd6d0
	s_mov_b32 s42, 0x75d4884
	;; [unrolled: 1-line block ×10, first 2 shown]
	s_delay_alu instid0(VALU_DEP_1) | instskip(SKIP_1) | instid1(VALU_DEP_1)
	v_fma_f64 v[176:177], v[156:157], v[178:179], -v[0:1]
	v_mul_f64_e32 v[0:1], v[162:163], v[182:183]
	v_fma_f64 v[156:157], v[160:161], v[180:181], v[0:1]
	v_mul_f64_e32 v[0:1], v[162:163], v[180:181]
	s_delay_alu instid0(VALU_DEP_1) | instskip(SKIP_1) | instid1(VALU_DEP_1)
	v_fma_f64 v[158:159], v[160:161], v[182:183], -v[0:1]
	v_mul_f64_e32 v[0:1], v[150:151], v[138:139]
	v_fma_f64 v[160:161], v[148:149], v[136:137], v[0:1]
	v_mul_f64_e32 v[0:1], v[150:151], v[136:137]
	s_delay_alu instid0(VALU_DEP_1) | instskip(SKIP_1) | instid1(VALU_DEP_1)
	v_fma_f64 v[148:149], v[148:149], v[138:139], -v[0:1]
	v_mul_f64_e32 v[0:1], v[154:155], v[174:175]
	v_fma_f64 v[136:137], v[152:153], v[172:173], v[0:1]
	v_mul_f64_e32 v[0:1], v[154:155], v[172:173]
	s_delay_alu instid0(VALU_DEP_1) | instskip(SKIP_2) | instid1(VALU_DEP_1)
	v_fma_f64 v[138:139], v[152:153], v[174:175], -v[0:1]
	s_wait_loadcnt 0x1
	v_mul_f64_e32 v[0:1], v[4:5], v[134:135]
	v_fma_f64 v[150:151], v[2:3], v[132:133], v[0:1]
	v_mul_f64_e32 v[0:1], v[4:5], v[132:133]
	s_delay_alu instid0(VALU_DEP_1) | instskip(SKIP_3) | instid1(VALU_DEP_1)
	v_fma_f64 v[140:141], v[2:3], v[134:135], -v[0:1]
	scratch_load_b128 v[2:5], off, off offset:420 th:TH_LOAD_LU ; 16-byte Folded Reload
	s_wait_loadcnt 0x0
	v_mul_f64_e32 v[0:1], v[4:5], v[170:171]
	v_fma_f64 v[132:133], v[2:3], v[168:169], v[0:1]
	v_mul_f64_e32 v[0:1], v[4:5], v[168:169]
	s_delay_alu instid0(VALU_DEP_1)
	v_fma_f64 v[134:135], v[2:3], v[170:171], -v[0:1]
	v_mul_f64_e32 v[0:1], v[8:9], v[122:123]
	v_mul_f64_e32 v[2:3], v[8:9], v[120:121]
	s_clause 0x6
	scratch_load_b128 v[8:11], off, off offset:356 th:TH_LOAD_LU
	scratch_load_b128 v[14:17], off, off offset:8 th:TH_LOAD_LU
	;; [unrolled: 1-line block ×7, first 2 shown]
	v_fma_f64 v[120:121], v[6:7], v[120:121], v[0:1]
	v_fma_f64 v[122:123], v[6:7], v[122:123], -v[2:3]
	s_delay_alu instid0(VALU_DEP_2) | instskip(NEXT) | instid1(VALU_DEP_2)
	v_add_f64_e32 v[208:209], v[92:93], v[120:121]
	v_add_f64_e32 v[210:211], v[94:95], v[122:123]
	s_wait_loadcnt 0x5
	v_mul_f64_e32 v[4:5], v[10:11], v[16:17]
	v_mul_f64_e32 v[0:1], v[10:11], v[14:15]
	scratch_load_b128 v[10:13], off, off offset:388 th:TH_LOAD_LU ; 16-byte Folded Reload
	v_fma_f64 v[72:73], v[8:9], v[14:15], v[4:5]
	v_mul_f64_e32 v[4:5], v[144:145], v[130:131]
	v_fma_f64 v[74:75], v[8:9], v[16:17], -v[0:1]
	v_mul_f64_e32 v[8:9], v[144:145], v[128:129]
	s_wait_loadcnt 0x5
	v_mul_f64_e32 v[16:17], v[42:43], v[110:111]
	s_wait_loadcnt 0x1
	v_mul_f64_e32 v[14:15], v[24:25], v[116:117]
	v_add_f64_e64 v[0:1], v[120:121], -v[72:73]
	v_fma_f64 v[76:77], v[142:143], v[128:129], v[4:5]
	v_mul_f64_e32 v[4:5], v[38:39], v[100:101]
	v_fma_f64 v[78:79], v[142:143], v[130:131], -v[8:9]
	v_mul_f64_e32 v[8:9], v[30:31], v[98:99]
	v_fma_f64 v[80:81], v[22:23], v[118:119], -v[14:15]
	v_mul_f64_e32 v[14:15], v[34:35], v[104:105]
	s_wait_alu 0xfffe
	v_mul_f64_e32 v[44:45], s[28:29], v[0:1]
	v_mul_f64_e32 v[46:47], s[26:27], v[0:1]
	s_wait_loadcnt 0x0
	v_mul_f64_e32 v[2:3], v[12:13], v[126:127]
	v_mul_f64_e32 v[6:7], v[12:13], v[124:125]
	;; [unrolled: 1-line block ×3, first 2 shown]
	scratch_load_b128 v[24:27], off, off offset:324 th:TH_LOAD_LU ; 16-byte Folded Reload
	v_fma_f64 v[82:83], v[10:11], v[124:125], v[2:3]
	v_fma_f64 v[84:85], v[10:11], v[126:127], -v[6:7]
	v_mul_f64_e32 v[6:7], v[42:43], v[108:109]
	v_mul_f64_e32 v[2:3], v[38:39], v[102:103]
	v_fma_f64 v[86:87], v[22:23], v[116:117], v[12:13]
	v_mul_f64_e32 v[12:13], v[30:31], v[96:97]
	v_add_f64_e64 v[22:23], v[122:123], -v[74:75]
	v_mul_f64_e32 v[42:43], s[30:31], v[0:1]
	v_mul_f64_e32 v[10:11], v[34:35], v[106:107]
	v_fma_f64 v[108:109], v[40:41], v[108:109], v[16:17]
	v_mul_f64_e32 v[16:17], s[20:21], v[0:1]
	v_fma_f64 v[124:125], v[28:29], v[96:97], v[8:9]
	v_add_f64_e64 v[116:117], v[82:83], -v[76:77]
	v_fma_f64 v[110:111], v[40:41], v[110:111], -v[6:7]
	v_fma_f64 v[2:3], v[36:37], v[100:101], v[2:3]
	v_fma_f64 v[6:7], v[36:37], v[102:103], -v[4:5]
	v_fma_f64 v[206:207], v[28:29], v[98:99], -v[12:13]
	;; [unrolled: 1-line block ×3, first 2 shown]
	v_mul_f64_e32 v[48:49], s[12:13], v[22:23]
	v_add_f64_e32 v[100:101], v[72:73], v[120:121]
	v_mul_f64_e32 v[40:41], s[24:25], v[0:1]
	v_mul_f64_e32 v[54:55], s[20:21], v[22:23]
	;; [unrolled: 1-line block ×7, first 2 shown]
	v_add_f64_e64 v[106:107], v[150:151], -v[132:133]
	v_mul_f64_e32 v[190:191], s[14:15], v[116:117]
	v_add_f64_e64 v[102:103], v[108:109], -v[2:3]
	v_fma_f64 v[68:69], v[100:101], s[36:37], -v[48:49]
	v_fma_f64 v[66:67], v[100:101], s[36:37], v[48:49]
	v_fma_f64 v[56:57], v[100:101], s[34:35], -v[54:55]
	v_fma_f64 v[60:61], v[100:101], s[44:45], -v[52:53]
	v_fma_f64 v[58:59], v[100:101], s[44:45], v[52:53]
	v_fma_f64 v[62:63], v[100:101], s[40:41], v[50:51]
	v_fma_f64 v[64:65], v[100:101], s[40:41], -v[50:51]
	v_fma_f64 v[52:53], v[100:101], s[16:17], -v[70:71]
	v_fma_f64 v[50:51], v[100:101], s[16:17], v[70:71]
	v_fma_f64 v[70:71], v[100:101], s[38:39], v[98:99]
	;; [unrolled: 1-line block ×3, first 2 shown]
	v_mul_f64_e32 v[194:195], s[18:19], v[106:107]
	v_add_f64_e32 v[68:69], v[92:93], v[68:69]
	v_add_f64_e32 v[66:67], v[92:93], v[66:67]
	;; [unrolled: 1-line block ×5, first 2 shown]
	v_mul_f64_e32 v[60:61], s[8:9], v[102:103]
	v_add_f64_e32 v[182:183], v[92:93], v[62:63]
	v_add_f64_e32 v[64:65], v[92:93], v[64:65]
	v_add_f64_e32 v[162:163], v[92:93], v[52:53]
	v_add_f64_e32 v[152:153], v[92:93], v[50:51]
	v_add_f64_e32 v[166:167], v[92:93], v[54:55]
	v_add_f64_e64 v[50:51], v[160:161], -v[136:137]
	s_delay_alu instid0(VALU_DEP_1) | instskip(SKIP_4) | instid1(VALU_DEP_3)
	v_mul_f64_e32 v[198:199], s[20:21], v[50:51]
	s_wait_loadcnt 0x0
	v_mul_f64_e32 v[18:19], v[26:27], v[114:115]
	v_mul_f64_e32 v[20:21], v[26:27], v[112:113]
	;; [unrolled: 1-line block ×3, first 2 shown]
	v_fma_f64 v[88:89], v[24:25], v[112:113], v[18:19]
	v_add_f64_e32 v[18:19], v[74:75], v[122:123]
	s_delay_alu instid0(VALU_DEP_4)
	v_fma_f64 v[90:91], v[24:25], v[114:115], -v[20:21]
	v_mul_f64_e32 v[20:21], s[12:13], v[0:1]
	v_mul_f64_e32 v[24:25], s[8:9], v[0:1]
	v_fma_f64 v[0:1], v[32:33], v[104:105], v[10:11]
	v_add_f64_e32 v[114:115], v[78:79], v[84:85]
	v_add_f64_e64 v[104:105], v[140:141], -v[134:135]
	v_add_f64_e64 v[118:119], v[86:87], -v[88:89]
	v_fma_f64 v[14:15], v[18:19], s[46:47], v[42:43]
	v_fma_f64 v[12:13], v[18:19], s[46:47], -v[42:43]
	v_mul_f64_e32 v[42:43], s[30:31], v[22:23]
	v_fma_f64 v[38:39], v[18:19], s[36:37], v[20:21]
	v_fma_f64 v[36:37], v[18:19], s[36:37], -v[20:21]
	v_fma_f64 v[34:35], v[18:19], s[40:41], v[24:25]
	v_fma_f64 v[32:33], v[18:19], s[40:41], -v[24:25]
	;; [unrolled: 2-line block ×5, first 2 shown]
	v_fma_f64 v[40:41], v[18:19], s[38:39], v[46:47]
	v_fma_f64 v[10:11], v[18:19], s[42:43], v[44:45]
	v_fma_f64 v[8:9], v[18:19], s[42:43], -v[44:45]
	v_fma_f64 v[18:19], v[18:19], s[38:39], -v[46:47]
	;; [unrolled: 1-line block ×4, first 2 shown]
	v_mul_f64_e32 v[196:197], s[18:19], v[104:105]
	v_add_f64_e64 v[98:99], v[148:149], -v[138:139]
	v_add_f64_e32 v[146:147], v[94:95], v[14:15]
	v_add_f64_e32 v[142:143], v[94:95], v[12:13]
	v_fma_f64 v[48:49], v[100:101], s[46:47], -v[42:43]
	v_add_f64_e32 v[38:39], v[94:95], v[38:39]
	v_add_f64_e32 v[122:123], v[94:95], v[36:37]
	;; [unrolled: 1-line block ×11, first 2 shown]
	v_add_f64_e64 v[40:41], v[206:207], -v[4:5]
	v_add_f64_e32 v[154:155], v[94:95], v[16:17]
	v_add_f64_e32 v[128:129], v[94:95], v[10:11]
	;; [unrolled: 1-line block ×6, first 2 shown]
	v_add_f64_e64 v[94:95], v[110:111], -v[6:7]
	v_fma_f64 v[46:47], v[100:101], s[46:47], v[42:43]
	v_add_f64_e32 v[32:33], v[108:109], v[2:3]
	v_fma_f64 v[42:43], v[100:101], s[42:43], v[96:97]
	v_add_f64_e32 v[120:121], v[92:93], v[44:45]
	v_add_f64_e32 v[44:45], v[80:81], v[90:91]
	;; [unrolled: 1-line block ×3, first 2 shown]
	v_add_f64_e64 v[100:101], v[84:85], -v[78:79]
	v_add_f64_e32 v[22:23], v[92:93], v[22:23]
	v_add_f64_e32 v[30:31], v[132:133], v[150:151]
	;; [unrolled: 1-line block ×3, first 2 shown]
	v_mul_f64_e32 v[200:201], s[20:21], v[98:99]
	v_add_f64_e64 v[26:27], v[184:185], -v[156:157]
	v_add_f64_e32 v[206:207], v[206:207], v[210:211]
	v_add_f64_e32 v[144:145], v[92:93], v[48:49]
	v_add_f64_e64 v[48:49], v[124:125], -v[0:1]
	v_add_f64_e32 v[124:125], v[124:125], v[208:209]
	v_mul_f64_e32 v[58:59], s[10:11], v[40:41]
	v_fma_f64 v[12:13], v[36:37], s[40:41], v[60:61]
	v_mul_f64_e32 v[62:63], s[8:9], v[94:95]
	v_add_f64_e32 v[130:131], v[92:93], v[46:47]
	v_add_f64_e64 v[46:47], v[80:81], -v[90:91]
	v_add_f64_e32 v[96:97], v[92:93], v[42:43]
	v_add_f64_e32 v[42:43], v[86:87], v[88:89]
	;; [unrolled: 1-line block ×3, first 2 shown]
	v_fma_f64 v[60:61], v[36:37], s[40:41], -v[60:61]
	v_mul_f64_e32 v[192:193], s[14:15], v[100:101]
	v_mul_f64_e32 v[202:203], s[22:23], v[26:27]
	v_add_f64_e32 v[110:111], v[110:111], v[206:207]
	v_mul_f64_e32 v[56:57], s[10:11], v[48:49]
	v_add_f64_e32 v[108:109], v[108:109], v[124:125]
	v_mul_f64_e32 v[124:125], s[24:25], v[48:49]
	v_fma_f64 v[10:11], v[24:25], s[38:39], -v[58:59]
	v_fma_f64 v[58:59], v[24:25], s[38:39], v[58:59]
	v_mul_f64_e32 v[70:71], s[0:1], v[46:47]
	v_add_f64_e32 v[80:81], v[80:81], v[110:111]
	v_fma_f64 v[8:9], v[28:29], s[38:39], v[56:57]
	v_fma_f64 v[56:57], v[28:29], s[38:39], -v[56:57]
	v_add_f64_e32 v[86:87], v[86:87], v[108:109]
	v_mul_f64_e32 v[108:109], s[14:15], v[40:41]
	v_add_f64_e32 v[10:11], v[10:11], v[68:69]
	v_mul_f64_e32 v[68:69], s[0:1], v[118:119]
	;; [unrolled: 2-line block ×4, first 2 shown]
	v_add_f64_e32 v[8:9], v[8:9], v[38:39]
	v_add_f64_e32 v[38:39], v[134:135], v[140:141]
	;; [unrolled: 1-line block ×4, first 2 shown]
	v_fma_f64 v[110:111], v[24:25], s[44:45], -v[108:109]
	v_fma_f64 v[108:109], v[24:25], s[44:45], v[108:109]
	v_add_f64_e32 v[80:81], v[140:141], v[80:81]
	v_fma_f64 v[86:87], v[24:25], s[36:37], -v[84:85]
	v_fma_f64 v[84:85], v[24:25], s[36:37], v[84:85]
	v_add_f64_e32 v[8:9], v[12:13], v[8:9]
	v_fma_f64 v[12:13], v[32:33], s[40:41], -v[62:63]
	v_add_f64_e32 v[56:57], v[60:61], v[56:57]
	v_fma_f64 v[60:61], v[32:33], s[40:41], v[62:63]
	v_add_f64_e32 v[82:83], v[150:151], v[82:83]
	v_add_f64_e32 v[108:109], v[108:109], v[130:131]
	v_fma_f64 v[130:131], v[28:29], s[16:17], v[124:125]
	v_add_f64_e32 v[110:111], v[110:111], v[144:145]
	v_fma_f64 v[124:125], v[28:29], s[16:17], -v[124:125]
	v_add_f64_e32 v[80:81], v[148:149], v[80:81]
	v_add_f64_e32 v[86:87], v[86:87], v[162:163]
	;; [unrolled: 1-line block ×4, first 2 shown]
	v_fma_f64 v[12:13], v[44:45], s[42:43], v[68:69]
	v_add_f64_e32 v[58:59], v[60:61], v[58:59]
	v_fma_f64 v[60:61], v[44:45], s[42:43], -v[68:69]
	v_mul_f64_e32 v[68:69], s[18:19], v[40:41]
	v_add_f64_e32 v[82:83], v[160:161], v[82:83]
	v_add_f64_e32 v[128:129], v[130:131], v[128:129]
	;; [unrolled: 1-line block ×5, first 2 shown]
	v_fma_f64 v[12:13], v[42:43], s[42:43], -v[70:71]
	v_add_f64_e32 v[56:57], v[60:61], v[56:57]
	v_fma_f64 v[60:61], v[42:43], s[42:43], v[70:71]
	v_add_f64_e32 v[82:83], v[184:185], v[82:83]
	v_add_f64_e32 v[80:81], v[158:159], v[80:81]
	;; [unrolled: 1-line block ×3, first 2 shown]
	v_fma_f64 v[12:13], v[114:115], s[44:45], v[190:191]
	v_add_f64_e32 v[58:59], v[60:61], v[58:59]
	v_fma_f64 v[60:61], v[114:115], s[44:45], -v[190:191]
	v_add_f64_e32 v[82:83], v[156:157], v[82:83]
	v_add_f64_e32 v[80:81], v[138:139], v[80:81]
	;; [unrolled: 1-line block ×3, first 2 shown]
	v_fma_f64 v[12:13], v[92:93], s[44:45], -v[192:193]
	v_add_f64_e32 v[56:57], v[60:61], v[56:57]
	v_fma_f64 v[60:61], v[92:93], s[44:45], v[192:193]
	v_add_f64_e32 v[82:83], v[136:137], v[82:83]
	v_add_f64_e32 v[80:81], v[134:135], v[80:81]
	;; [unrolled: 1-line block ×3, first 2 shown]
	v_fma_f64 v[12:13], v[38:39], s[46:47], v[194:195]
	v_add_f64_e32 v[58:59], v[60:61], v[58:59]
	v_fma_f64 v[60:61], v[38:39], s[46:47], -v[194:195]
	v_add_f64_e32 v[82:83], v[132:133], v[82:83]
	v_add_f64_e32 v[78:79], v[78:79], v[80:81]
	v_mul_f64_e32 v[80:81], s[12:13], v[48:49]
	v_add_f64_e32 v[8:9], v[12:13], v[8:9]
	v_fma_f64 v[12:13], v[30:31], s[46:47], -v[196:197]
	v_add_f64_e32 v[56:57], v[60:61], v[56:57]
	v_fma_f64 v[60:61], v[30:31], s[46:47], v[196:197]
	v_add_f64_e32 v[76:77], v[76:77], v[82:83]
	v_add_f64_e32 v[78:79], v[90:91], v[78:79]
	v_fma_f64 v[82:83], v[28:29], s[36:37], v[80:81]
	v_fma_f64 v[80:81], v[28:29], s[36:37], -v[80:81]
	v_add_f64_e32 v[10:11], v[12:13], v[10:11]
	v_fma_f64 v[12:13], v[16:17], s[34:35], v[198:199]
	v_add_f64_e32 v[58:59], v[60:61], v[58:59]
	v_fma_f64 v[60:61], v[16:17], s[34:35], -v[198:199]
	v_add_f64_e32 v[76:77], v[88:89], v[76:77]
	v_mul_f64_e32 v[88:89], s[14:15], v[48:49]
	v_add_f64_e32 v[6:7], v[6:7], v[78:79]
	v_add_f64_e32 v[82:83], v[82:83], v[164:165]
	;; [unrolled: 1-line block ×7, first 2 shown]
	v_mul_f64_e32 v[76:77], s[52:53], v[40:41]
	v_fma_f64 v[90:91], v[28:29], s[44:45], v[88:89]
	v_fma_f64 v[88:89], v[28:29], s[44:45], -v[88:89]
	v_add_f64_e32 v[4:5], v[4:5], v[6:7]
	v_fma_f64 v[20:21], v[12:13], s[34:35], -v[200:201]
	v_fma_f64 v[60:61], v[12:13], s[34:35], v[200:201]
	v_add_f64_e32 v[0:1], v[0:1], v[2:3]
	v_fma_f64 v[78:79], v[24:25], s[40:41], -v[76:77]
	v_fma_f64 v[76:77], v[24:25], s[40:41], v[76:77]
	v_add_f64_e32 v[90:91], v[90:91], v[146:147]
	v_add_f64_e32 v[88:89], v[88:89], v[142:143]
	;; [unrolled: 1-line block ×3, first 2 shown]
	v_mul_f64_e32 v[4:5], s[52:53], v[48:49]
	v_add_f64_e32 v[52:53], v[20:21], v[10:11]
	v_add_f64_e32 v[10:11], v[176:177], v[158:159]
	v_add_f64_e32 v[60:61], v[60:61], v[58:59]
	v_add_f64_e32 v[72:73], v[72:73], v[0:1]
	v_add_f64_e32 v[76:77], v[76:77], v[166:167]
	v_add_f64_e32 v[78:79], v[78:79], v[170:171]
	v_fma_f64 v[6:7], v[28:29], s[40:41], v[4:5]
	v_fma_f64 v[4:5], v[28:29], s[40:41], -v[4:5]
	v_fma_f64 v[20:21], v[10:11], s[16:17], v[202:203]
	v_fma_f64 v[58:59], v[10:11], s[16:17], -v[202:203]
	s_delay_alu instid0(VALU_DEP_4) | instskip(NEXT) | instid1(VALU_DEP_4)
	v_add_f64_e32 v[6:7], v[6:7], v[172:173]
	v_add_f64_e32 v[4:5], v[4:5], v[168:169]
	s_delay_alu instid0(VALU_DEP_4) | instskip(SKIP_3) | instid1(VALU_DEP_3)
	v_add_f64_e32 v[54:55], v[20:21], v[8:9]
	v_add_f64_e64 v[20:21], v[176:177], -v[158:159]
	v_add_f64_e32 v[8:9], v[184:185], v[156:157]
	v_add_f64_e32 v[58:59], v[58:59], v[56:57]
	v_mul_f64_e32 v[204:205], s[22:23], v[20:21]
	s_delay_alu instid0(VALU_DEP_1) | instskip(SKIP_2) | instid1(VALU_DEP_3)
	v_fma_f64 v[62:63], v[8:9], s[16:17], v[204:205]
	v_fma_f64 v[212:213], v[8:9], s[16:17], -v[204:205]
	v_mul_f64_e32 v[204:205], s[20:21], v[26:27]
	v_add_f64_e32 v[56:57], v[62:63], v[60:61]
	v_fma_f64 v[62:63], v[24:25], s[46:47], -v[68:69]
	v_fma_f64 v[60:61], v[28:29], s[46:47], v[66:67]
	v_fma_f64 v[66:67], v[28:29], s[46:47], -v[66:67]
	v_fma_f64 v[68:69], v[24:25], s[46:47], v[68:69]
	v_add_f64_e32 v[52:53], v[212:213], v[52:53]
	v_mul_f64_e32 v[212:213], s[20:21], v[20:21]
	v_add_f64_e32 v[62:63], v[62:63], v[64:65]
	v_mul_f64_e32 v[64:65], s[24:25], v[102:103]
	v_add_f64_e32 v[60:61], v[60:61], v[126:127]
	v_add_f64_e32 v[66:67], v[66:67], v[180:181]
	;; [unrolled: 1-line block ×3, first 2 shown]
	v_mul_f64_e32 v[180:181], s[12:13], v[50:51]
	v_mul_f64_e32 v[182:183], s[12:13], v[98:99]
	v_fma_f64 v[70:71], v[36:37], s[16:17], v[64:65]
	v_fma_f64 v[64:65], v[36:37], s[16:17], -v[64:65]
	s_delay_alu instid0(VALU_DEP_2) | instskip(SKIP_1) | instid1(VALU_DEP_3)
	v_add_f64_e32 v[60:61], v[70:71], v[60:61]
	v_mul_f64_e32 v[70:71], s[24:25], v[94:95]
	v_add_f64_e32 v[64:65], v[64:65], v[66:67]
	s_delay_alu instid0(VALU_DEP_2) | instskip(SKIP_2) | instid1(VALU_DEP_3)
	v_fma_f64 v[122:123], v[32:33], s[16:17], -v[70:71]
	v_fma_f64 v[66:67], v[32:33], s[16:17], v[70:71]
	v_fma_f64 v[70:71], v[8:9], s[34:35], v[212:213]
	v_add_f64_e32 v[62:63], v[122:123], v[62:63]
	v_mul_f64_e32 v[122:123], s[50:51], v[118:119]
	s_delay_alu instid0(VALU_DEP_4) | instskip(NEXT) | instid1(VALU_DEP_2)
	v_add_f64_e32 v[66:67], v[66:67], v[68:69]
	v_fma_f64 v[126:127], v[44:45], s[44:45], v[122:123]
	v_fma_f64 v[68:69], v[44:45], s[44:45], -v[122:123]
	s_delay_alu instid0(VALU_DEP_2) | instskip(SKIP_1) | instid1(VALU_DEP_3)
	v_add_f64_e32 v[60:61], v[126:127], v[60:61]
	v_mul_f64_e32 v[126:127], s[50:51], v[46:47]
	v_add_f64_e32 v[64:65], v[68:69], v[64:65]
	s_delay_alu instid0(VALU_DEP_2) | instskip(SKIP_2) | instid1(VALU_DEP_3)
	v_fma_f64 v[190:191], v[42:43], s[44:45], -v[126:127]
	v_fma_f64 v[68:69], v[42:43], s[44:45], v[126:127]
	v_mul_f64_e32 v[126:127], s[18:19], v[20:21]
	v_add_f64_e32 v[62:63], v[190:191], v[62:63]
	v_mul_f64_e32 v[190:191], s[26:27], v[116:117]
	s_delay_alu instid0(VALU_DEP_4) | instskip(NEXT) | instid1(VALU_DEP_2)
	v_add_f64_e32 v[66:67], v[68:69], v[66:67]
	v_fma_f64 v[192:193], v[114:115], s[38:39], v[190:191]
	v_fma_f64 v[68:69], v[114:115], s[38:39], -v[190:191]
	v_mul_f64_e32 v[190:191], s[22:23], v[116:117]
	s_delay_alu instid0(VALU_DEP_3) | instskip(SKIP_1) | instid1(VALU_DEP_4)
	v_add_f64_e32 v[60:61], v[192:193], v[60:61]
	v_mul_f64_e32 v[192:193], s[26:27], v[100:101]
	v_add_f64_e32 v[64:65], v[68:69], v[64:65]
	s_delay_alu instid0(VALU_DEP_2) | instskip(SKIP_2) | instid1(VALU_DEP_3)
	v_fma_f64 v[194:195], v[92:93], s[38:39], -v[192:193]
	v_fma_f64 v[68:69], v[92:93], s[38:39], v[192:193]
	v_mul_f64_e32 v[192:193], s[22:23], v[100:101]
	v_add_f64_e32 v[62:63], v[194:195], v[62:63]
	v_mul_f64_e32 v[194:195], s[12:13], v[106:107]
	s_delay_alu instid0(VALU_DEP_4) | instskip(NEXT) | instid1(VALU_DEP_2)
	v_add_f64_e32 v[66:67], v[68:69], v[66:67]
	v_fma_f64 v[196:197], v[38:39], s[36:37], v[194:195]
	v_fma_f64 v[68:69], v[38:39], s[36:37], -v[194:195]
	v_mul_f64_e32 v[194:195], s[8:9], v[118:119]
	s_delay_alu instid0(VALU_DEP_3) | instskip(SKIP_1) | instid1(VALU_DEP_4)
	;; [unrolled: 15-line block ×3, first 2 shown]
	v_add_f64_e32 v[60:61], v[200:201], v[60:61]
	v_mul_f64_e32 v[200:201], s[0:1], v[98:99]
	v_add_f64_e32 v[64:65], v[68:69], v[64:65]
	s_delay_alu instid0(VALU_DEP_4) | instskip(SKIP_1) | instid1(VALU_DEP_4)
	v_fma_f64 v[130:131], v[36:37], s[38:39], -v[198:199]
	v_fma_f64 v[122:123], v[36:37], s[38:39], v[198:199]
	v_fma_f64 v[202:203], v[12:13], s[42:43], -v[200:201]
	v_fma_f64 v[68:69], v[12:13], s[42:43], v[200:201]
	v_mul_f64_e32 v[200:201], s[26:27], v[94:95]
	s_delay_alu instid0(VALU_DEP_3) | instskip(SKIP_1) | instid1(VALU_DEP_4)
	v_add_f64_e32 v[202:203], v[202:203], v[62:63]
	v_fma_f64 v[62:63], v[10:11], s[34:35], v[204:205]
	v_add_f64_e32 v[68:69], v[68:69], v[66:67]
	v_fma_f64 v[66:67], v[10:11], s[34:35], -v[204:205]
	v_mul_f64_e32 v[204:205], s[48:49], v[40:41]
	s_delay_alu instid0(VALU_DEP_4) | instskip(SKIP_1) | instid1(VALU_DEP_4)
	v_add_f64_e32 v[62:63], v[62:63], v[60:61]
	v_fma_f64 v[60:61], v[8:9], s[34:35], -v[212:213]
	v_add_f64_e32 v[66:67], v[66:67], v[64:65]
	s_delay_alu instid0(VALU_DEP_4)
	v_fma_f64 v[2:3], v[24:25], s[34:35], v[204:205]
	v_add_f64_e32 v[64:65], v[70:71], v[68:69]
	v_fma_f64 v[70:71], v[24:25], s[34:35], -v[204:205]
	v_add_f64_e32 v[60:61], v[60:61], v[202:203]
	v_mul_f64_e32 v[202:203], s[48:49], v[48:49]
	v_add_f64_e32 v[2:3], v[2:3], v[174:175]
	v_mul_f64_e32 v[48:49], s[28:29], v[48:49]
	;; [unrolled: 2-line block ×3, first 2 shown]
	v_fma_f64 v[0:1], v[28:29], s[34:35], -v[202:203]
	v_fma_f64 v[68:69], v[28:29], s[34:35], v[202:203]
	s_delay_alu instid0(VALU_DEP_2) | instskip(NEXT) | instid1(VALU_DEP_2)
	v_add_f64_e32 v[0:1], v[0:1], v[178:179]
	v_add_f64_e32 v[68:69], v[68:69], v[186:187]
	v_mul_f64_e32 v[186:187], s[28:29], v[106:107]
	s_delay_alu instid0(VALU_DEP_3) | instskip(SKIP_1) | instid1(VALU_DEP_4)
	v_add_f64_e32 v[0:1], v[130:131], v[0:1]
	v_fma_f64 v[130:131], v[32:33], s[38:39], v[200:201]
	v_add_f64_e32 v[68:69], v[122:123], v[68:69]
	v_fma_f64 v[122:123], v[32:33], s[38:39], -v[200:201]
	s_delay_alu instid0(VALU_DEP_3) | instskip(SKIP_1) | instid1(VALU_DEP_3)
	v_add_f64_e32 v[2:3], v[130:131], v[2:3]
	v_mul_f64_e32 v[130:131], s[0:1], v[102:103]
	v_add_f64_e32 v[70:71], v[122:123], v[70:71]
	v_fma_f64 v[122:123], v[44:45], s[40:41], v[194:195]
	s_delay_alu instid0(VALU_DEP_3) | instskip(SKIP_1) | instid1(VALU_DEP_3)
	v_fma_f64 v[132:133], v[36:37], s[42:43], v[130:131]
	v_fma_f64 v[130:131], v[36:37], s[42:43], -v[130:131]
	v_add_f64_e32 v[68:69], v[122:123], v[68:69]
	v_fma_f64 v[122:123], v[42:43], s[40:41], -v[196:197]
	s_delay_alu instid0(VALU_DEP_4) | instskip(SKIP_2) | instid1(VALU_DEP_4)
	v_add_f64_e32 v[6:7], v[132:133], v[6:7]
	v_mul_f64_e32 v[132:133], s[0:1], v[94:95]
	v_add_f64_e32 v[4:5], v[130:131], v[4:5]
	v_add_f64_e32 v[70:71], v[122:123], v[70:71]
	v_fma_f64 v[122:123], v[114:115], s[16:17], v[190:191]
	s_delay_alu instid0(VALU_DEP_4) | instskip(SKIP_1) | instid1(VALU_DEP_3)
	v_fma_f64 v[130:131], v[32:33], s[42:43], v[132:133]
	v_fma_f64 v[134:135], v[32:33], s[42:43], -v[132:133]
	v_add_f64_e32 v[68:69], v[122:123], v[68:69]
	v_fma_f64 v[122:123], v[92:93], s[16:17], -v[192:193]
	s_delay_alu instid0(VALU_DEP_4) | instskip(SKIP_2) | instid1(VALU_DEP_4)
	v_add_f64_e32 v[76:77], v[130:131], v[76:77]
	v_mul_f64_e32 v[130:131], s[48:49], v[102:103]
	v_add_f64_e32 v[78:79], v[134:135], v[78:79]
	v_add_f64_e32 v[70:71], v[122:123], v[70:71]
	v_fma_f64 v[122:123], v[38:39], s[42:43], v[186:187]
	s_delay_alu instid0(VALU_DEP_4) | instskip(SKIP_1) | instid1(VALU_DEP_3)
	;; [unrolled: 11-line block ×3, first 2 shown]
	v_fma_f64 v[130:131], v[32:33], s[34:35], v[132:133]
	v_fma_f64 v[134:135], v[32:33], s[34:35], -v[132:133]
	v_add_f64_e32 v[68:69], v[122:123], v[68:69]
	v_fma_f64 v[122:123], v[12:13], s[36:37], -v[182:183]
	s_delay_alu instid0(VALU_DEP_4) | instskip(SKIP_2) | instid1(VALU_DEP_4)
	v_add_f64_e32 v[84:85], v[130:131], v[84:85]
	v_mul_f64_e32 v[130:131], s[54:55], v[102:103]
	v_add_f64_e32 v[86:87], v[134:135], v[86:87]
	v_add_f64_e32 v[212:213], v[122:123], v[70:71]
	v_mul_f64_e32 v[122:123], s[18:19], v[26:27]
	s_delay_alu instid0(VALU_DEP_4) | instskip(SKIP_1) | instid1(VALU_DEP_3)
	v_fma_f64 v[132:133], v[36:37], s[36:37], v[130:131]
	v_fma_f64 v[130:131], v[36:37], s[36:37], -v[130:131]
	v_fma_f64 v[70:71], v[10:11], s[46:47], v[122:123]
	s_delay_alu instid0(VALU_DEP_3) | instskip(SKIP_1) | instid1(VALU_DEP_4)
	v_add_f64_e32 v[90:91], v[132:133], v[90:91]
	v_mul_f64_e32 v[132:133], s[54:55], v[94:95]
	v_add_f64_e32 v[88:89], v[130:131], v[88:89]
	s_delay_alu instid0(VALU_DEP_4) | instskip(SKIP_1) | instid1(VALU_DEP_4)
	v_add_f64_e32 v[70:71], v[70:71], v[68:69]
	v_fma_f64 v[68:69], v[8:9], s[46:47], -v[126:127]
	v_fma_f64 v[130:131], v[32:33], s[36:37], v[132:133]
	v_fma_f64 v[134:135], v[32:33], s[36:37], -v[132:133]
	s_delay_alu instid0(VALU_DEP_3) | instskip(NEXT) | instid1(VALU_DEP_3)
	v_add_f64_e32 v[68:69], v[68:69], v[212:213]
	v_add_f64_e32 v[108:109], v[130:131], v[108:109]
	v_mul_f64_e32 v[130:131], s[14:15], v[102:103]
	s_delay_alu instid0(VALU_DEP_4) | instskip(SKIP_1) | instid1(VALU_DEP_3)
	v_add_f64_e32 v[110:111], v[134:135], v[110:111]
	v_mul_f64_e32 v[102:103], s[30:31], v[102:103]
	v_fma_f64 v[132:133], v[36:37], s[44:45], v[130:131]
	v_fma_f64 v[124:125], v[36:37], s[44:45], -v[130:131]
	s_delay_alu instid0(VALU_DEP_2) | instskip(SKIP_1) | instid1(VALU_DEP_3)
	v_add_f64_e32 v[128:129], v[132:133], v[128:129]
	v_fma_f64 v[132:133], v[44:45], s[40:41], -v[194:195]
	v_add_f64_e32 v[112:113], v[124:125], v[112:113]
	s_delay_alu instid0(VALU_DEP_2) | instskip(SKIP_1) | instid1(VALU_DEP_1)
	v_add_f64_e32 v[0:1], v[132:133], v[0:1]
	v_fma_f64 v[132:133], v[42:43], s[40:41], v[196:197]
	v_add_f64_e32 v[2:3], v[132:133], v[2:3]
	v_mul_f64_e32 v[132:133], s[30:31], v[118:119]
	s_delay_alu instid0(VALU_DEP_1) | instskip(SKIP_1) | instid1(VALU_DEP_2)
	v_fma_f64 v[134:135], v[44:45], s[46:47], v[132:133]
	v_fma_f64 v[132:133], v[44:45], s[46:47], -v[132:133]
	v_add_f64_e32 v[6:7], v[134:135], v[6:7]
	v_mul_f64_e32 v[134:135], s[30:31], v[46:47]
	s_delay_alu instid0(VALU_DEP_3) | instskip(NEXT) | instid1(VALU_DEP_2)
	v_add_f64_e32 v[4:5], v[132:133], v[4:5]
	v_fma_f64 v[132:133], v[42:43], s[46:47], v[134:135]
	v_fma_f64 v[136:137], v[42:43], s[46:47], -v[134:135]
	s_delay_alu instid0(VALU_DEP_2) | instskip(SKIP_1) | instid1(VALU_DEP_3)
	v_add_f64_e32 v[76:77], v[132:133], v[76:77]
	v_mul_f64_e32 v[132:133], s[10:11], v[118:119]
	v_add_f64_e32 v[78:79], v[136:137], v[78:79]
	s_delay_alu instid0(VALU_DEP_2) | instskip(SKIP_1) | instid1(VALU_DEP_2)
	v_fma_f64 v[134:135], v[44:45], s[38:39], v[132:133]
	v_fma_f64 v[132:133], v[44:45], s[38:39], -v[132:133]
	v_add_f64_e32 v[82:83], v[134:135], v[82:83]
	v_mul_f64_e32 v[134:135], s[10:11], v[46:47]
	s_delay_alu instid0(VALU_DEP_3) | instskip(NEXT) | instid1(VALU_DEP_2)
	v_add_f64_e32 v[80:81], v[132:133], v[80:81]
	v_fma_f64 v[132:133], v[42:43], s[38:39], v[134:135]
	v_fma_f64 v[136:137], v[42:43], s[38:39], -v[134:135]
	s_delay_alu instid0(VALU_DEP_2) | instskip(SKIP_1) | instid1(VALU_DEP_3)
	v_add_f64_e32 v[84:85], v[132:133], v[84:85]
	v_mul_f64_e32 v[132:133], s[48:49], v[118:119]
	v_add_f64_e32 v[86:87], v[136:137], v[86:87]
	s_delay_alu instid0(VALU_DEP_2) | instskip(SKIP_1) | instid1(VALU_DEP_2)
	v_fma_f64 v[134:135], v[44:45], s[34:35], v[132:133]
	v_fma_f64 v[132:133], v[44:45], s[34:35], -v[132:133]
	v_add_f64_e32 v[90:91], v[134:135], v[90:91]
	v_mul_f64_e32 v[134:135], s[48:49], v[46:47]
	s_delay_alu instid0(VALU_DEP_3) | instskip(NEXT) | instid1(VALU_DEP_2)
	v_add_f64_e32 v[88:89], v[132:133], v[88:89]
	v_fma_f64 v[132:133], v[42:43], s[34:35], v[134:135]
	v_fma_f64 v[136:137], v[42:43], s[34:35], -v[134:135]
	s_delay_alu instid0(VALU_DEP_2) | instskip(SKIP_1) | instid1(VALU_DEP_3)
	v_add_f64_e32 v[108:109], v[132:133], v[108:109]
	v_fma_f64 v[132:133], v[114:115], s[16:17], -v[190:191]
	v_add_f64_e32 v[110:111], v[136:137], v[110:111]
	s_delay_alu instid0(VALU_DEP_2) | instskip(SKIP_1) | instid1(VALU_DEP_1)
	v_add_f64_e32 v[0:1], v[132:133], v[0:1]
	v_fma_f64 v[132:133], v[92:93], s[16:17], v[192:193]
	v_add_f64_e32 v[2:3], v[132:133], v[2:3]
	v_mul_f64_e32 v[132:133], s[12:13], v[116:117]
	s_delay_alu instid0(VALU_DEP_1) | instskip(SKIP_1) | instid1(VALU_DEP_2)
	v_fma_f64 v[134:135], v[114:115], s[36:37], v[132:133]
	v_fma_f64 v[132:133], v[114:115], s[36:37], -v[132:133]
	v_add_f64_e32 v[6:7], v[134:135], v[6:7]
	v_mul_f64_e32 v[134:135], s[12:13], v[100:101]
	s_delay_alu instid0(VALU_DEP_3) | instskip(NEXT) | instid1(VALU_DEP_2)
	v_add_f64_e32 v[4:5], v[132:133], v[4:5]
	v_fma_f64 v[132:133], v[92:93], s[36:37], v[134:135]
	v_fma_f64 v[136:137], v[92:93], s[36:37], -v[134:135]
	s_delay_alu instid0(VALU_DEP_2) | instskip(SKIP_1) | instid1(VALU_DEP_3)
	v_add_f64_e32 v[76:77], v[132:133], v[76:77]
	v_mul_f64_e32 v[132:133], s[30:31], v[116:117]
	v_add_f64_e32 v[78:79], v[136:137], v[78:79]
	s_delay_alu instid0(VALU_DEP_2) | instskip(SKIP_1) | instid1(VALU_DEP_2)
	v_fma_f64 v[134:135], v[114:115], s[46:47], v[132:133]
	v_fma_f64 v[132:133], v[114:115], s[46:47], -v[132:133]
	v_add_f64_e32 v[82:83], v[134:135], v[82:83]
	v_mul_f64_e32 v[134:135], s[30:31], v[100:101]
	s_delay_alu instid0(VALU_DEP_3) | instskip(NEXT) | instid1(VALU_DEP_2)
	v_add_f64_e32 v[80:81], v[132:133], v[80:81]
	v_fma_f64 v[132:133], v[92:93], s[46:47], v[134:135]
	v_fma_f64 v[136:137], v[92:93], s[46:47], -v[134:135]
	s_delay_alu instid0(VALU_DEP_2) | instskip(SKIP_1) | instid1(VALU_DEP_3)
	v_add_f64_e32 v[84:85], v[132:133], v[84:85]
	v_mul_f64_e32 v[132:133], s[0:1], v[116:117]
	v_add_f64_e32 v[86:87], v[136:137], v[86:87]
	s_delay_alu instid0(VALU_DEP_2) | instskip(SKIP_1) | instid1(VALU_DEP_2)
	v_fma_f64 v[134:135], v[114:115], s[42:43], v[132:133]
	v_fma_f64 v[132:133], v[114:115], s[42:43], -v[132:133]
	v_add_f64_e32 v[90:91], v[134:135], v[90:91]
	v_mul_f64_e32 v[134:135], s[0:1], v[100:101]
	s_delay_alu instid0(VALU_DEP_3) | instskip(NEXT) | instid1(VALU_DEP_2)
	v_add_f64_e32 v[88:89], v[132:133], v[88:89]
	;; [unrolled: 44-line block ×3, first 2 shown]
	v_fma_f64 v[132:133], v[30:31], s[38:39], v[134:135]
	v_fma_f64 v[136:137], v[30:31], s[38:39], -v[134:135]
	s_delay_alu instid0(VALU_DEP_2) | instskip(SKIP_1) | instid1(VALU_DEP_3)
	v_add_f64_e32 v[108:109], v[132:133], v[108:109]
	v_fma_f64 v[132:133], v[16:17], s[36:37], -v[180:181]
	v_add_f64_e32 v[110:111], v[136:137], v[110:111]
	s_delay_alu instid0(VALU_DEP_2) | instskip(SKIP_1) | instid1(VALU_DEP_1)
	v_add_f64_e32 v[0:1], v[132:133], v[0:1]
	v_fma_f64 v[132:133], v[12:13], s[36:37], v[182:183]
	v_add_f64_e32 v[132:133], v[132:133], v[2:3]
	v_mul_f64_e32 v[2:3], s[26:27], v[50:51]
	s_delay_alu instid0(VALU_DEP_1) | instskip(SKIP_1) | instid1(VALU_DEP_2)
	v_fma_f64 v[134:135], v[16:17], s[38:39], v[2:3]
	v_fma_f64 v[2:3], v[16:17], s[38:39], -v[2:3]
	v_add_f64_e32 v[134:135], v[134:135], v[6:7]
	v_mul_f64_e32 v[6:7], s[26:27], v[98:99]
	s_delay_alu instid0(VALU_DEP_3) | instskip(NEXT) | instid1(VALU_DEP_2)
	v_add_f64_e32 v[4:5], v[2:3], v[4:5]
	v_fma_f64 v[2:3], v[12:13], s[38:39], v[6:7]
	v_fma_f64 v[136:137], v[12:13], s[38:39], -v[6:7]
	s_delay_alu instid0(VALU_DEP_2) | instskip(SKIP_1) | instid1(VALU_DEP_3)
	v_add_f64_e32 v[76:77], v[2:3], v[76:77]
	v_mul_f64_e32 v[2:3], s[50:51], v[50:51]
	v_add_f64_e32 v[78:79], v[136:137], v[78:79]
	s_delay_alu instid0(VALU_DEP_2) | instskip(SKIP_1) | instid1(VALU_DEP_2)
	v_fma_f64 v[6:7], v[16:17], s[44:45], v[2:3]
	v_fma_f64 v[2:3], v[16:17], s[44:45], -v[2:3]
	v_add_f64_e32 v[82:83], v[6:7], v[82:83]
	v_mul_f64_e32 v[6:7], s[50:51], v[98:99]
	s_delay_alu instid0(VALU_DEP_3) | instskip(NEXT) | instid1(VALU_DEP_2)
	v_add_f64_e32 v[80:81], v[2:3], v[80:81]
	v_fma_f64 v[2:3], v[12:13], s[44:45], v[6:7]
	v_fma_f64 v[136:137], v[12:13], s[44:45], -v[6:7]
	s_delay_alu instid0(VALU_DEP_2) | instskip(SKIP_1) | instid1(VALU_DEP_3)
	v_add_f64_e32 v[84:85], v[2:3], v[84:85]
	v_mul_f64_e32 v[2:3], s[24:25], v[50:51]
	v_add_f64_e32 v[86:87], v[136:137], v[86:87]
	s_delay_alu instid0(VALU_DEP_2) | instskip(SKIP_1) | instid1(VALU_DEP_2)
	v_fma_f64 v[6:7], v[16:17], s[16:17], v[2:3]
	v_fma_f64 v[2:3], v[16:17], s[16:17], -v[2:3]
	v_add_f64_e32 v[90:91], v[6:7], v[90:91]
	v_mul_f64_e32 v[6:7], s[24:25], v[98:99]
	s_delay_alu instid0(VALU_DEP_3) | instskip(SKIP_1) | instid1(VALU_DEP_3)
	v_add_f64_e32 v[88:89], v[2:3], v[88:89]
	v_mul_f64_e32 v[2:3], s[12:13], v[118:119]
	v_fma_f64 v[136:137], v[12:13], s[16:17], -v[6:7]
	v_fma_f64 v[6:7], v[12:13], s[16:17], v[6:7]
	s_delay_alu instid0(VALU_DEP_2) | instskip(NEXT) | instid1(VALU_DEP_4)
	v_add_f64_e32 v[110:111], v[136:137], v[110:111]
	v_fma_f64 v[136:137], v[44:45], s[36:37], v[2:3]
	v_fma_f64 v[2:3], v[44:45], s[36:37], -v[2:3]
	s_delay_alu instid0(VALU_DEP_2) | instskip(SKIP_1) | instid1(VALU_DEP_3)
	v_add_f64_e32 v[128:129], v[136:137], v[128:129]
	v_mul_f64_e32 v[136:137], s[52:53], v[116:117]
	v_add_f64_e32 v[2:3], v[2:3], v[112:113]
	s_delay_alu instid0(VALU_DEP_2) | instskip(SKIP_1) | instid1(VALU_DEP_2)
	v_fma_f64 v[138:139], v[114:115], s[40:41], v[136:137]
	v_fma_f64 v[112:113], v[114:115], s[40:41], -v[136:137]
	v_add_f64_e32 v[128:129], v[138:139], v[128:129]
	v_mul_f64_e32 v[138:139], s[48:49], v[106:107]
	s_delay_alu instid0(VALU_DEP_3) | instskip(NEXT) | instid1(VALU_DEP_2)
	v_add_f64_e32 v[2:3], v[112:113], v[2:3]
	v_fma_f64 v[140:141], v[38:39], s[34:35], v[138:139]
	s_delay_alu instid0(VALU_DEP_1) | instskip(SKIP_2) | instid1(VALU_DEP_2)
	v_add_f64_e32 v[128:129], v[140:141], v[128:129]
	v_mul_f64_e32 v[140:141], s[24:25], v[40:41]
	v_mul_f64_e32 v[40:41], s[28:29], v[40:41]
	v_fma_f64 v[142:143], v[24:25], s[16:17], -v[140:141]
	v_fma_f64 v[112:113], v[24:25], s[16:17], v[140:141]
	s_delay_alu instid0(VALU_DEP_2) | instskip(SKIP_1) | instid1(VALU_DEP_3)
	v_add_f64_e32 v[120:121], v[142:143], v[120:121]
	v_mul_f64_e32 v[142:143], s[14:15], v[94:95]
	v_add_f64_e32 v[96:97], v[112:113], v[96:97]
	s_delay_alu instid0(VALU_DEP_2) | instskip(SKIP_1) | instid1(VALU_DEP_2)
	v_fma_f64 v[144:145], v[32:33], s[44:45], -v[142:143]
	v_fma_f64 v[112:113], v[32:33], s[44:45], v[142:143]
	v_add_f64_e32 v[120:121], v[144:145], v[120:121]
	v_mul_f64_e32 v[144:145], s[12:13], v[46:47]
	s_delay_alu instid0(VALU_DEP_3) | instskip(NEXT) | instid1(VALU_DEP_2)
	v_add_f64_e32 v[96:97], v[112:113], v[96:97]
	v_fma_f64 v[146:147], v[42:43], s[36:37], -v[144:145]
	v_fma_f64 v[112:113], v[42:43], s[36:37], v[144:145]
	s_delay_alu instid0(VALU_DEP_2) | instskip(SKIP_1) | instid1(VALU_DEP_3)
	v_add_f64_e32 v[120:121], v[146:147], v[120:121]
	v_mul_f64_e32 v[146:147], s[52:53], v[100:101]
	v_add_f64_e32 v[96:97], v[112:113], v[96:97]
	s_delay_alu instid0(VALU_DEP_2) | instskip(SKIP_1) | instid1(VALU_DEP_2)
	v_fma_f64 v[112:113], v[92:93], s[40:41], v[146:147]
	v_fma_f64 v[148:149], v[92:93], s[40:41], -v[146:147]
	v_add_f64_e32 v[96:97], v[112:113], v[96:97]
	v_fma_f64 v[112:113], v[28:29], s[42:43], v[48:49]
	v_fma_f64 v[28:29], v[28:29], s[42:43], -v[48:49]
	v_mul_f64_e32 v[48:49], s[30:31], v[94:95]
	v_add_f64_e32 v[120:121], v[148:149], v[120:121]
	s_delay_alu instid0(VALU_DEP_4) | instskip(SKIP_1) | instid1(VALU_DEP_4)
	v_add_f64_e32 v[34:35], v[112:113], v[34:35]
	v_fma_f64 v[112:113], v[36:37], s[46:47], v[102:103]
	v_fma_f64 v[94:95], v[32:33], s[46:47], -v[48:49]
	v_fma_f64 v[36:37], v[36:37], s[46:47], -v[102:103]
	v_add_f64_e32 v[18:19], v[28:29], v[18:19]
	v_fma_f64 v[32:33], v[32:33], s[46:47], v[48:49]
	v_mul_f64_e32 v[28:29], s[20:21], v[116:117]
	v_mul_f64_e32 v[48:49], s[14:15], v[104:105]
	v_add_f64_e32 v[34:35], v[112:113], v[34:35]
	v_mul_f64_e32 v[112:113], s[24:25], v[118:119]
	v_add_f64_e32 v[18:19], v[36:37], v[18:19]
	s_delay_alu instid0(VALU_DEP_2) | instskip(SKIP_1) | instid1(VALU_DEP_2)
	v_fma_f64 v[118:119], v[44:45], s[16:17], v[112:113]
	v_fma_f64 v[44:45], v[44:45], s[16:17], -v[112:113]
	v_add_f64_e32 v[34:35], v[118:119], v[34:35]
	v_fma_f64 v[118:119], v[24:25], s[42:43], -v[40:41]
	v_fma_f64 v[24:25], v[24:25], s[42:43], v[40:41]
	v_fma_f64 v[40:41], v[114:115], s[34:35], v[28:29]
	v_fma_f64 v[28:29], v[114:115], s[34:35], -v[28:29]
	v_add_f64_e32 v[18:19], v[44:45], v[18:19]
	v_add_f64_e32 v[22:23], v[118:119], v[22:23]
	v_add_f64_e32 v[14:15], v[24:25], v[14:15]
	v_mul_f64_e32 v[24:25], s[24:25], v[46:47]
	v_mul_f64_e32 v[46:47], s[48:49], v[104:105]
	v_add_f64_e32 v[34:35], v[40:41], v[34:35]
	v_add_f64_e32 v[18:19], v[28:29], v[18:19]
	v_fma_f64 v[104:105], v[10:11], s[46:47], -v[122:123]
	v_add_f64_e32 v[22:23], v[94:95], v[22:23]
	v_add_f64_e32 v[14:15], v[32:33], v[14:15]
	v_fma_f64 v[36:37], v[42:43], s[16:17], -v[24:25]
	v_fma_f64 v[24:25], v[42:43], s[16:17], v[24:25]
	v_mul_f64_e32 v[32:33], s[20:21], v[100:101]
	v_mul_f64_e32 v[42:43], s[14:15], v[106:107]
	;; [unrolled: 1-line block ×4, first 2 shown]
	v_fma_f64 v[106:107], v[8:9], s[46:47], v[126:127]
	v_add_f64_e32 v[22:23], v[36:37], v[22:23]
	v_add_f64_e32 v[14:15], v[24:25], v[14:15]
	v_fma_f64 v[44:45], v[92:93], s[34:35], -v[32:33]
	v_fma_f64 v[32:33], v[92:93], s[34:35], v[32:33]
	v_mul_f64_e32 v[24:25], s[18:19], v[50:51]
	v_fma_f64 v[92:93], v[38:39], s[34:35], -v[138:139]
	v_fma_f64 v[40:41], v[38:39], s[44:45], v[42:43]
	v_fma_f64 v[38:39], v[38:39], s[44:45], -v[42:43]
	v_fma_f64 v[42:43], v[30:31], s[34:35], -v[46:47]
	v_fma_f64 v[46:47], v[30:31], s[34:35], v[46:47]
	v_mul_f64_e32 v[50:51], s[8:9], v[50:51]
	v_mul_f64_e32 v[36:37], s[18:19], v[98:99]
	v_add_f64_e32 v[98:99], v[6:7], v[108:109]
	v_fma_f64 v[108:109], v[10:11], s[42:43], v[100:101]
	v_fma_f64 v[100:101], v[10:11], s[42:43], -v[100:101]
	v_add_f64_e32 v[22:23], v[44:45], v[22:23]
	v_add_f64_e32 v[14:15], v[32:33], v[14:15]
	v_fma_f64 v[28:29], v[16:17], s[46:47], v[24:25]
	v_fma_f64 v[32:33], v[30:31], s[44:45], v[48:49]
	v_fma_f64 v[30:31], v[30:31], s[44:45], -v[48:49]
	v_mul_f64_e32 v[48:49], s[14:15], v[26:27]
	v_mul_f64_e32 v[44:45], s[14:15], v[20:21]
	v_fma_f64 v[24:25], v[16:17], s[46:47], -v[24:25]
	v_add_f64_e32 v[2:3], v[92:93], v[2:3]
	v_mul_f64_e32 v[92:93], s[8:9], v[26:27]
	v_add_f64_e32 v[46:47], v[46:47], v[96:97]
	v_mul_f64_e32 v[96:97], s[10:11], v[26:27]
	v_add_f64_e32 v[34:35], v[40:41], v[34:35]
	v_fma_f64 v[40:41], v[16:17], s[40:41], v[50:51]
	v_mul_f64_e32 v[26:27], s[12:13], v[26:27]
	v_fma_f64 v[16:17], v[16:17], s[40:41], -v[50:51]
	v_mul_f64_e32 v[50:51], s[0:1], v[20:21]
	v_add_f64_e32 v[18:19], v[38:39], v[18:19]
	v_mul_f64_e32 v[38:39], s[8:9], v[20:21]
	v_fma_f64 v[6:7], v[12:13], s[46:47], -v[36:37]
	v_fma_f64 v[36:37], v[12:13], s[46:47], v[36:37]
	v_add_f64_e32 v[42:43], v[42:43], v[120:121]
	v_add_f64_e32 v[102:103], v[28:29], v[128:129]
	v_fma_f64 v[28:29], v[12:13], s[40:41], v[94:95]
	v_add_f64_e32 v[14:15], v[32:33], v[14:15]
	v_mul_f64_e32 v[32:33], s[10:11], v[20:21]
	v_mul_f64_e32 v[20:21], s[12:13], v[20:21]
	v_fma_f64 v[12:13], v[12:13], s[40:41], -v[94:95]
	v_add_f64_e32 v[22:23], v[30:31], v[22:23]
	v_add_f64_e32 v[24:25], v[24:25], v[2:3]
	v_fma_f64 v[112:113], v[10:11], s[40:41], v[92:93]
	v_fma_f64 v[92:93], v[10:11], s[40:41], -v[92:93]
	v_fma_f64 v[94:95], v[10:11], s[44:45], v[48:49]
	v_add_f64_e32 v[40:41], v[40:41], v[34:35]
	v_fma_f64 v[114:115], v[10:11], s[36:37], v[26:27]
	v_fma_f64 v[26:27], v[10:11], s[36:37], -v[26:27]
	v_fma_f64 v[34:35], v[8:9], s[42:43], -v[50:51]
	v_add_f64_e32 v[16:17], v[16:17], v[18:19]
	v_fma_f64 v[116:117], v[8:9], s[40:41], -v[38:39]
	v_fma_f64 v[38:39], v[8:9], s[40:41], v[38:39]
	v_add_f64_e32 v[36:37], v[36:37], v[46:47]
	v_fma_f64 v[46:47], v[10:11], s[38:39], v[96:97]
	v_fma_f64 v[96:97], v[10:11], s[38:39], -v[96:97]
	v_fma_f64 v[50:51], v[8:9], s[42:43], v[50:51]
	v_fma_f64 v[30:31], v[8:9], s[44:45], -v[44:45]
	v_fma_f64 v[48:49], v[10:11], s[44:45], -v[48:49]
	v_fma_f64 v[44:45], v[8:9], s[44:45], v[44:45]
	v_add_f64_e32 v[42:43], v[6:7], v[42:43]
	v_add_f64_e32 v[10:11], v[100:101], v[80:81]
	;; [unrolled: 1-line block ×5, first 2 shown]
	v_fma_f64 v[118:119], v[8:9], s[38:39], -v[32:33]
	v_fma_f64 v[120:121], v[8:9], s[36:37], v[20:21]
	v_fma_f64 v[32:33], v[8:9], s[38:39], v[32:33]
	v_fma_f64 v[122:123], v[8:9], s[36:37], -v[20:21]
	v_add_f64_e32 v[124:125], v[12:13], v[22:23]
	v_add_f64_e32 v[14:15], v[92:93], v[88:89]
	;; [unrolled: 1-line block ×20, first 2 shown]
	ds_store_b128 v255, v[72:75]
	ds_store_b128 v233, v[20:23] offset:832
	ds_store_b128 v233, v[16:19] offset:1664
	ds_store_b128 v233, v[12:15] offset:2496
	ds_store_b128 v233, v[8:11] offset:3328
	ds_store_b128 v233, v[4:7] offset:4160
	ds_store_b128 v233, v[0:3] offset:4992
	ds_store_b128 v233, v[64:67] offset:5824
	ds_store_b128 v233, v[56:59] offset:6656
	ds_store_b128 v233, v[52:55] offset:7488
	ds_store_b128 v233, v[60:63] offset:8320
	ds_store_b128 v233, v[68:71] offset:9152
	ds_store_b128 v233, v[24:27] offset:9984
	ds_store_b128 v233, v[28:31] offset:10816
	ds_store_b128 v233, v[32:35] offset:11648
	ds_store_b128 v233, v[36:39] offset:12480
	ds_store_b128 v233, v[40:43] offset:13312
.LBB0_17:
	s_or_b32 exec_lo, exec_lo, s33
	global_wb scope:SCOPE_SE
	s_wait_storecnt_dscnt 0x0
	s_barrier_signal -1
	s_barrier_wait -1
	global_inv scope:SCOPE_SE
	ds_load_b128 v[0:3], v255
	ds_load_b128 v[4:7], v255 offset:1088
	s_clause 0x1
	scratch_load_b64 v[8:9], off, off offset:24 th:TH_LOAD_LU
	scratch_load_b32 v70, off, off th:TH_LOAD_LU
	s_mov_b32 s0, 0x1288b013
	s_mov_b32 s1, 0x3f5288b0
	s_mul_u64 s[8:9], s[4:5], 0x440
	s_wait_loadcnt 0x1
	v_mov_b32_e32 v68, v8
	ds_load_b128 v[8:11], v255 offset:2176
	ds_load_b128 v[12:15], v233 offset:3264
	;; [unrolled: 1-line block ×3, first 2 shown]
	s_clause 0x1
	scratch_load_b128 v[118:121], off, off offset:112 th:TH_LOAD_LU
	scratch_load_b128 v[114:117], off, off offset:96 th:TH_LOAD_LU
	ds_load_b128 v[20:23], v255 offset:5440
	ds_load_b128 v[24:27], v255 offset:6528
	;; [unrolled: 1-line block ×8, first 2 shown]
	s_clause 0x1
	scratch_load_b128 v[106:109], off, off offset:48 th:TH_LOAD_LU
	scratch_load_b128 v[102:105], off, off offset:32 th:TH_LOAD_LU
	v_mad_co_u64_u32 v[52:53], null, s6, v68, 0
	s_wait_loadcnt 0x4
	v_mad_co_u64_u32 v[54:55], null, s4, v70, 0
	s_delay_alu instid0(VALU_DEP_1) | instskip(NEXT) | instid1(VALU_DEP_1)
	v_mad_co_u64_u32 v[68:69], null, s7, v68, v[53:54]
	v_mov_b32_e32 v53, v68
	s_delay_alu instid0(VALU_DEP_1) | instskip(NEXT) | instid1(VALU_DEP_1)
	v_lshlrev_b64_e32 v[52:53], 4, v[52:53]
	v_add_co_u32 v52, vcc_lo, s2, v52
	s_wait_alu 0xfffd
	s_delay_alu instid0(VALU_DEP_2)
	v_add_co_ci_u32_e32 v53, vcc_lo, s3, v53, vcc_lo
	s_wait_loadcnt_dscnt 0x30c
	v_mul_f64_e32 v[56:57], v[120:121], v[2:3]
	v_mul_f64_e32 v[58:59], v[120:121], v[0:1]
	scratch_load_b128 v[120:123], off, off offset:128 th:TH_LOAD_LU ; 16-byte Folded Reload
	s_wait_loadcnt_dscnt 0x20a
	v_mul_f64_e32 v[64:65], v[108:109], v[10:11]
	v_mul_f64_e32 v[66:67], v[108:109], v[8:9]
	scratch_load_b128 v[108:111], off, off offset:64 th:TH_LOAD_LU ; 16-byte Folded Reload
	v_mul_f64_e32 v[60:61], v[116:117], v[6:7]
	v_mul_f64_e32 v[62:63], v[116:117], v[4:5]
	s_wait_loadcnt_dscnt 0x209
	v_mul_f64_e32 v[72:73], v[104:105], v[12:13]
	v_mad_co_u64_u32 v[69:70], null, s5, v70, v[55:56]
	v_fma_f64 v[0:1], v[118:119], v[0:1], v[56:57]
	v_fma_f64 v[2:3], v[118:119], v[2:3], -v[58:59]
	v_mul_f64_e32 v[70:71], v[104:105], v[14:15]
	v_fma_f64 v[8:9], v[106:107], v[8:9], v[64:65]
	v_fma_f64 v[4:5], v[114:115], v[4:5], v[60:61]
	v_fma_f64 v[6:7], v[114:115], v[6:7], -v[62:63]
	v_fma_f64 v[10:11], v[106:107], v[10:11], -v[66:67]
	;; [unrolled: 1-line block ×3, first 2 shown]
	v_mov_b32_e32 v55, v69
	s_delay_alu instid0(VALU_DEP_1) | instskip(NEXT) | instid1(VALU_DEP_1)
	v_lshlrev_b64_e32 v[54:55], 4, v[54:55]
	v_add_co_u32 v52, vcc_lo, v52, v54
	s_wait_alu 0xfffd
	s_delay_alu instid0(VALU_DEP_2) | instskip(SKIP_1) | instid1(VALU_DEP_2)
	v_add_co_ci_u32_e32 v53, vcc_lo, v53, v55, vcc_lo
	s_wait_alu 0xfffe
	v_add_co_u32 v54, vcc_lo, v52, s8
	s_wait_alu 0xfffd
	s_delay_alu instid0(VALU_DEP_2)
	v_add_co_ci_u32_e32 v55, vcc_lo, s9, v53, vcc_lo
	v_mul_f64_e32 v[0:1], s[0:1], v[0:1]
	v_mul_f64_e32 v[2:3], s[0:1], v[2:3]
	v_fma_f64 v[12:13], v[102:103], v[12:13], v[70:71]
	v_mul_f64_e32 v[8:9], s[0:1], v[8:9]
	v_mul_f64_e32 v[4:5], s[0:1], v[4:5]
	;; [unrolled: 1-line block ×6, first 2 shown]
	s_wait_loadcnt_dscnt 0x106
	v_mul_f64_e32 v[82:83], v[122:123], v[26:27]
	v_mul_f64_e32 v[84:85], v[122:123], v[24:25]
	scratch_load_b128 v[122:125], off, off offset:144 th:TH_LOAD_LU ; 16-byte Folded Reload
	s_wait_loadcnt 0x1
	v_mul_f64_e32 v[74:75], v[110:111], v[18:19]
	v_mul_f64_e32 v[76:77], v[110:111], v[16:17]
	scratch_load_b128 v[110:113], off, off offset:80 th:TH_LOAD_LU ; 16-byte Folded Reload
	v_fma_f64 v[24:25], v[120:121], v[24:25], v[82:83]
	v_fma_f64 v[26:27], v[120:121], v[26:27], -v[84:85]
	v_fma_f64 v[16:17], v[108:109], v[16:17], v[74:75]
	v_fma_f64 v[18:19], v[108:109], v[18:19], -v[76:77]
	s_delay_alu instid0(VALU_DEP_4) | instskip(NEXT) | instid1(VALU_DEP_4)
	v_mul_f64_e32 v[24:25], s[0:1], v[24:25]
	v_mul_f64_e32 v[26:27], s[0:1], v[26:27]
	s_delay_alu instid0(VALU_DEP_4) | instskip(NEXT) | instid1(VALU_DEP_4)
	v_mul_f64_e32 v[16:17], s[0:1], v[16:17]
	v_mul_f64_e32 v[18:19], s[0:1], v[18:19]
	s_wait_loadcnt_dscnt 0x105
	v_mul_f64_e32 v[86:87], v[124:125], v[30:31]
	v_mul_f64_e32 v[88:89], v[124:125], v[28:29]
	scratch_load_b128 v[124:127], off, off offset:160 th:TH_LOAD_LU ; 16-byte Folded Reload
	s_wait_loadcnt 0x1
	v_mul_f64_e32 v[78:79], v[112:113], v[22:23]
	v_mul_f64_e32 v[80:81], v[112:113], v[20:21]
	scratch_load_b128 v[112:115], off, off offset:208 th:TH_LOAD_LU ; 16-byte Folded Reload
	v_fma_f64 v[28:29], v[122:123], v[28:29], v[86:87]
	v_fma_f64 v[30:31], v[122:123], v[30:31], -v[88:89]
	v_fma_f64 v[20:21], v[110:111], v[20:21], v[78:79]
	v_fma_f64 v[22:23], v[110:111], v[22:23], -v[80:81]
	s_delay_alu instid0(VALU_DEP_4) | instskip(NEXT) | instid1(VALU_DEP_4)
	v_mul_f64_e32 v[28:29], s[0:1], v[28:29]
	v_mul_f64_e32 v[30:31], s[0:1], v[30:31]
	s_delay_alu instid0(VALU_DEP_4) | instskip(NEXT) | instid1(VALU_DEP_4)
	v_mul_f64_e32 v[20:21], s[0:1], v[20:21]
	v_mul_f64_e32 v[22:23], s[0:1], v[22:23]
	s_wait_loadcnt_dscnt 0x104
	v_mul_f64_e32 v[90:91], v[126:127], v[34:35]
	v_mul_f64_e32 v[92:93], v[126:127], v[32:33]
	scratch_load_b128 v[126:129], off, off offset:176 th:TH_LOAD_LU ; 16-byte Folded Reload
	s_wait_loadcnt_dscnt 0x101
	v_mul_f64_e32 v[56:57], v[114:115], v[46:47]
	v_mul_f64_e32 v[58:59], v[114:115], v[44:45]
	scratch_load_b128 v[114:117], off, off offset:224 th:TH_LOAD_LU ; 16-byte Folded Reload
	v_fma_f64 v[32:33], v[124:125], v[32:33], v[90:91]
	v_fma_f64 v[34:35], v[124:125], v[34:35], -v[92:93]
	v_fma_f64 v[44:45], v[112:113], v[44:45], v[56:57]
	v_fma_f64 v[46:47], v[112:113], v[46:47], -v[58:59]
	v_add_co_u32 v56, vcc_lo, v54, s8
	s_wait_alu 0xfffd
	v_add_co_ci_u32_e32 v57, vcc_lo, s9, v55, vcc_lo
	s_delay_alu instid0(VALU_DEP_2) | instskip(SKIP_1) | instid1(VALU_DEP_2)
	v_add_co_u32 v58, vcc_lo, v56, s8
	s_wait_alu 0xfffd
	v_add_co_ci_u32_e32 v59, vcc_lo, s9, v57, vcc_lo
	v_mul_f64_e32 v[32:33], s[0:1], v[32:33]
	v_mul_f64_e32 v[34:35], s[0:1], v[34:35]
	s_wait_loadcnt 0x1
	v_mul_f64_e32 v[94:95], v[128:129], v[38:39]
	v_mul_f64_e32 v[96:97], v[128:129], v[36:37]
	scratch_load_b128 v[128:131], off, off offset:192 th:TH_LOAD_LU ; 16-byte Folded Reload
	s_wait_loadcnt_dscnt 0x100
	v_mul_f64_e32 v[60:61], v[116:117], v[50:51]
	v_mul_f64_e32 v[62:63], v[116:117], v[48:49]
	s_clause 0x3
	global_store_b128 v[52:53], v[0:3], off
	global_store_b128 v[54:55], v[4:7], off
	;; [unrolled: 1-line block ×4, first 2 shown]
	v_fma_f64 v[36:37], v[126:127], v[36:37], v[94:95]
	v_fma_f64 v[38:39], v[126:127], v[38:39], -v[96:97]
	v_fma_f64 v[48:49], v[114:115], v[48:49], v[60:61]
	v_fma_f64 v[50:51], v[114:115], v[50:51], -v[62:63]
	v_add_co_u32 v60, vcc_lo, v58, s8
	s_wait_alu 0xfffd
	v_add_co_ci_u32_e32 v61, vcc_lo, s9, v59, vcc_lo
	s_delay_alu instid0(VALU_DEP_2) | instskip(SKIP_1) | instid1(VALU_DEP_2)
	v_add_co_u32 v62, vcc_lo, v60, s8
	s_wait_alu 0xfffd
	v_add_co_ci_u32_e32 v63, vcc_lo, s9, v61, vcc_lo
	global_store_b128 v[60:61], v[16:19], off
	global_store_b128 v[62:63], v[20:23], off
	v_mul_f64_e32 v[0:1], s[0:1], v[36:37]
	v_mul_f64_e32 v[2:3], s[0:1], v[38:39]
	;; [unrolled: 1-line block ×4, first 2 shown]
	v_add_co_u32 v44, vcc_lo, v62, s8
	s_wait_alu 0xfffd
	v_add_co_ci_u32_e32 v45, vcc_lo, s9, v63, vcc_lo
	s_delay_alu instid0(VALU_DEP_2) | instskip(SKIP_1) | instid1(VALU_DEP_2)
	v_add_co_u32 v8, vcc_lo, v44, s8
	s_wait_alu 0xfffd
	v_add_co_ci_u32_e32 v9, vcc_lo, s9, v45, vcc_lo
	global_store_b128 v[44:45], v[24:27], off
	v_add_co_u32 v10, vcc_lo, v8, s8
	s_wait_alu 0xfffd
	v_add_co_ci_u32_e32 v11, vcc_lo, s9, v9, vcc_lo
	global_store_b128 v[8:9], v[28:31], off
	v_add_co_u32 v12, vcc_lo, v10, s8
	s_wait_alu 0xfffd
	v_add_co_ci_u32_e32 v13, vcc_lo, s9, v11, vcc_lo
	s_delay_alu instid0(VALU_DEP_2) | instskip(SKIP_1) | instid1(VALU_DEP_2)
	v_add_co_u32 v14, vcc_lo, v12, s8
	s_wait_alu 0xfffd
	v_add_co_ci_u32_e32 v15, vcc_lo, s9, v13, vcc_lo
	s_delay_alu instid0(VALU_DEP_2) | instskip(SKIP_1) | instid1(VALU_DEP_2)
	;; [unrolled: 4-line block ×3, first 2 shown]
	v_add_co_u32 v8, vcc_lo, v16, s8
	s_wait_alu 0xfffd
	v_add_co_ci_u32_e32 v9, vcc_lo, s9, v17, vcc_lo
	s_wait_loadcnt 0x0
	v_mul_f64_e32 v[98:99], v[130:131], v[42:43]
	v_mul_f64_e32 v[100:101], v[130:131], v[40:41]
	s_delay_alu instid0(VALU_DEP_2) | instskip(NEXT) | instid1(VALU_DEP_2)
	v_fma_f64 v[40:41], v[128:129], v[40:41], v[98:99]
	v_fma_f64 v[42:43], v[128:129], v[42:43], -v[100:101]
	s_delay_alu instid0(VALU_DEP_2) | instskip(NEXT) | instid1(VALU_DEP_2)
	v_mul_f64_e32 v[4:5], s[0:1], v[40:41]
	v_mul_f64_e32 v[6:7], s[0:1], v[42:43]
	;; [unrolled: 1-line block ×4, first 2 shown]
	global_store_b128 v[10:11], v[32:35], off
	global_store_b128 v[12:13], v[0:3], off
	;; [unrolled: 1-line block ×5, first 2 shown]
.LBB0_18:
	s_nop 0
	s_sendmsg sendmsg(MSG_DEALLOC_VGPRS)
	s_endpgm
	.section	.rodata,"a",@progbits
	.p2align	6, 0x0
	.amdhsa_kernel bluestein_single_fwd_len884_dim1_dp_op_CI_CI
		.amdhsa_group_segment_fixed_size 42432
		.amdhsa_private_segment_fixed_size 1032
		.amdhsa_kernarg_size 104
		.amdhsa_user_sgpr_count 2
		.amdhsa_user_sgpr_dispatch_ptr 0
		.amdhsa_user_sgpr_queue_ptr 0
		.amdhsa_user_sgpr_kernarg_segment_ptr 1
		.amdhsa_user_sgpr_dispatch_id 0
		.amdhsa_user_sgpr_private_segment_size 0
		.amdhsa_wavefront_size32 1
		.amdhsa_uses_dynamic_stack 0
		.amdhsa_enable_private_segment 1
		.amdhsa_system_sgpr_workgroup_id_x 1
		.amdhsa_system_sgpr_workgroup_id_y 0
		.amdhsa_system_sgpr_workgroup_id_z 0
		.amdhsa_system_sgpr_workgroup_info 0
		.amdhsa_system_vgpr_workitem_id 0
		.amdhsa_next_free_vgpr 256
		.amdhsa_next_free_sgpr 60
		.amdhsa_reserve_vcc 1
		.amdhsa_float_round_mode_32 0
		.amdhsa_float_round_mode_16_64 0
		.amdhsa_float_denorm_mode_32 3
		.amdhsa_float_denorm_mode_16_64 3
		.amdhsa_fp16_overflow 0
		.amdhsa_workgroup_processor_mode 1
		.amdhsa_memory_ordered 1
		.amdhsa_forward_progress 0
		.amdhsa_round_robin_scheduling 0
		.amdhsa_exception_fp_ieee_invalid_op 0
		.amdhsa_exception_fp_denorm_src 0
		.amdhsa_exception_fp_ieee_div_zero 0
		.amdhsa_exception_fp_ieee_overflow 0
		.amdhsa_exception_fp_ieee_underflow 0
		.amdhsa_exception_fp_ieee_inexact 0
		.amdhsa_exception_int_div_zero 0
	.end_amdhsa_kernel
	.text
.Lfunc_end0:
	.size	bluestein_single_fwd_len884_dim1_dp_op_CI_CI, .Lfunc_end0-bluestein_single_fwd_len884_dim1_dp_op_CI_CI
                                        ; -- End function
	.section	.AMDGPU.csdata,"",@progbits
; Kernel info:
; codeLenInByte = 27080
; NumSgprs: 62
; NumVgprs: 256
; ScratchSize: 1032
; MemoryBound: 0
; FloatMode: 240
; IeeeMode: 1
; LDSByteSize: 42432 bytes/workgroup (compile time only)
; SGPRBlocks: 7
; VGPRBlocks: 31
; NumSGPRsForWavesPerEU: 62
; NumVGPRsForWavesPerEU: 256
; Occupancy: 5
; WaveLimiterHint : 1
; COMPUTE_PGM_RSRC2:SCRATCH_EN: 1
; COMPUTE_PGM_RSRC2:USER_SGPR: 2
; COMPUTE_PGM_RSRC2:TRAP_HANDLER: 0
; COMPUTE_PGM_RSRC2:TGID_X_EN: 1
; COMPUTE_PGM_RSRC2:TGID_Y_EN: 0
; COMPUTE_PGM_RSRC2:TGID_Z_EN: 0
; COMPUTE_PGM_RSRC2:TIDIG_COMP_CNT: 0
	.text
	.p2alignl 7, 3214868480
	.fill 96, 4, 3214868480
	.type	__hip_cuid_8539685ebb602ee7,@object ; @__hip_cuid_8539685ebb602ee7
	.section	.bss,"aw",@nobits
	.globl	__hip_cuid_8539685ebb602ee7
__hip_cuid_8539685ebb602ee7:
	.byte	0                               ; 0x0
	.size	__hip_cuid_8539685ebb602ee7, 1

	.ident	"AMD clang version 19.0.0git (https://github.com/RadeonOpenCompute/llvm-project roc-6.4.0 25133 c7fe45cf4b819c5991fe208aaa96edf142730f1d)"
	.section	".note.GNU-stack","",@progbits
	.addrsig
	.addrsig_sym __hip_cuid_8539685ebb602ee7
	.amdgpu_metadata
---
amdhsa.kernels:
  - .args:
      - .actual_access:  read_only
        .address_space:  global
        .offset:         0
        .size:           8
        .value_kind:     global_buffer
      - .actual_access:  read_only
        .address_space:  global
        .offset:         8
        .size:           8
        .value_kind:     global_buffer
      - .actual_access:  read_only
        .address_space:  global
        .offset:         16
        .size:           8
        .value_kind:     global_buffer
      - .actual_access:  read_only
        .address_space:  global
        .offset:         24
        .size:           8
        .value_kind:     global_buffer
      - .actual_access:  read_only
        .address_space:  global
        .offset:         32
        .size:           8
        .value_kind:     global_buffer
      - .offset:         40
        .size:           8
        .value_kind:     by_value
      - .address_space:  global
        .offset:         48
        .size:           8
        .value_kind:     global_buffer
      - .address_space:  global
        .offset:         56
        .size:           8
        .value_kind:     global_buffer
      - .address_space:  global
        .offset:         64
        .size:           8
        .value_kind:     global_buffer
      - .address_space:  global
        .offset:         72
        .size:           8
        .value_kind:     global_buffer
      - .offset:         80
        .size:           4
        .value_kind:     by_value
      - .address_space:  global
        .offset:         88
        .size:           8
        .value_kind:     global_buffer
      - .address_space:  global
        .offset:         96
        .size:           8
        .value_kind:     global_buffer
    .group_segment_fixed_size: 42432
    .kernarg_segment_align: 8
    .kernarg_segment_size: 104
    .language:       OpenCL C
    .language_version:
      - 2
      - 0
    .max_flat_workgroup_size: 204
    .name:           bluestein_single_fwd_len884_dim1_dp_op_CI_CI
    .private_segment_fixed_size: 1032
    .sgpr_count:     62
    .sgpr_spill_count: 0
    .symbol:         bluestein_single_fwd_len884_dim1_dp_op_CI_CI.kd
    .uniform_work_group_size: 1
    .uses_dynamic_stack: false
    .vgpr_count:     256
    .vgpr_spill_count: 265
    .wavefront_size: 32
    .workgroup_processor_mode: 1
amdhsa.target:   amdgcn-amd-amdhsa--gfx1201
amdhsa.version:
  - 1
  - 2
...

	.end_amdgpu_metadata
